;; amdgpu-corpus repo=ROCm/rocFFT kind=compiled arch=gfx1201 opt=O3
	.text
	.amdgcn_target "amdgcn-amd-amdhsa--gfx1201"
	.amdhsa_code_object_version 6
	.protected	fft_rtc_back_len1260_factors_2_2_3_3_5_7_wgs_63_tpt_63_halfLds_dp_op_CI_CI_unitstride_sbrr_R2C_dirReg ; -- Begin function fft_rtc_back_len1260_factors_2_2_3_3_5_7_wgs_63_tpt_63_halfLds_dp_op_CI_CI_unitstride_sbrr_R2C_dirReg
	.globl	fft_rtc_back_len1260_factors_2_2_3_3_5_7_wgs_63_tpt_63_halfLds_dp_op_CI_CI_unitstride_sbrr_R2C_dirReg
	.p2align	8
	.type	fft_rtc_back_len1260_factors_2_2_3_3_5_7_wgs_63_tpt_63_halfLds_dp_op_CI_CI_unitstride_sbrr_R2C_dirReg,@function
fft_rtc_back_len1260_factors_2_2_3_3_5_7_wgs_63_tpt_63_halfLds_dp_op_CI_CI_unitstride_sbrr_R2C_dirReg: ; @fft_rtc_back_len1260_factors_2_2_3_3_5_7_wgs_63_tpt_63_halfLds_dp_op_CI_CI_unitstride_sbrr_R2C_dirReg
; %bb.0:
	s_clause 0x2
	s_load_b128 s[8:11], s[0:1], 0x0
	s_load_b128 s[4:7], s[0:1], 0x58
	;; [unrolled: 1-line block ×3, first 2 shown]
	v_mul_u32_u24_e32 v1, 0x411, v0
	v_mov_b32_e32 v3, 0
	s_delay_alu instid0(VALU_DEP_2) | instskip(NEXT) | instid1(VALU_DEP_1)
	v_lshrrev_b32_e32 v1, 16, v1
	v_add_nc_u32_e32 v5, ttmp9, v1
	v_mov_b32_e32 v1, 0
	v_mov_b32_e32 v2, 0
	;; [unrolled: 1-line block ×3, first 2 shown]
	s_wait_kmcnt 0x0
	v_cmp_lt_u64_e64 s2, s[10:11], 2
	s_delay_alu instid0(VALU_DEP_1)
	s_and_b32 vcc_lo, exec_lo, s2
	s_cbranch_vccnz .LBB0_8
; %bb.1:
	s_load_b64 s[2:3], s[0:1], 0x10
	v_mov_b32_e32 v1, 0
	v_mov_b32_e32 v2, 0
	s_add_nc_u64 s[16:17], s[14:15], 8
	s_add_nc_u64 s[18:19], s[12:13], 8
	s_mov_b64 s[20:21], 1
	s_delay_alu instid0(VALU_DEP_1)
	v_dual_mov_b32 v125, v2 :: v_dual_mov_b32 v124, v1
	s_wait_kmcnt 0x0
	s_add_nc_u64 s[22:23], s[2:3], 8
	s_mov_b32 s3, 0
.LBB0_2:                                ; =>This Inner Loop Header: Depth=1
	s_load_b64 s[24:25], s[22:23], 0x0
                                        ; implicit-def: $vgpr130_vgpr131
	s_mov_b32 s2, exec_lo
	s_wait_kmcnt 0x0
	v_or_b32_e32 v4, s25, v6
	s_delay_alu instid0(VALU_DEP_1)
	v_cmpx_ne_u64_e32 0, v[3:4]
	s_wait_alu 0xfffe
	s_xor_b32 s26, exec_lo, s2
	s_cbranch_execz .LBB0_4
; %bb.3:                                ;   in Loop: Header=BB0_2 Depth=1
	s_cvt_f32_u32 s2, s24
	s_cvt_f32_u32 s27, s25
	s_sub_nc_u64 s[30:31], 0, s[24:25]
	s_wait_alu 0xfffe
	s_delay_alu instid0(SALU_CYCLE_1) | instskip(SKIP_1) | instid1(SALU_CYCLE_2)
	s_fmamk_f32 s2, s27, 0x4f800000, s2
	s_wait_alu 0xfffe
	v_s_rcp_f32 s2, s2
	s_delay_alu instid0(TRANS32_DEP_1) | instskip(SKIP_1) | instid1(SALU_CYCLE_2)
	s_mul_f32 s2, s2, 0x5f7ffffc
	s_wait_alu 0xfffe
	s_mul_f32 s27, s2, 0x2f800000
	s_wait_alu 0xfffe
	s_delay_alu instid0(SALU_CYCLE_2) | instskip(SKIP_1) | instid1(SALU_CYCLE_2)
	s_trunc_f32 s27, s27
	s_wait_alu 0xfffe
	s_fmamk_f32 s2, s27, 0xcf800000, s2
	s_cvt_u32_f32 s29, s27
	s_wait_alu 0xfffe
	s_delay_alu instid0(SALU_CYCLE_1) | instskip(SKIP_1) | instid1(SALU_CYCLE_2)
	s_cvt_u32_f32 s28, s2
	s_wait_alu 0xfffe
	s_mul_u64 s[34:35], s[30:31], s[28:29]
	s_wait_alu 0xfffe
	s_mul_hi_u32 s37, s28, s35
	s_mul_i32 s36, s28, s35
	s_mul_hi_u32 s2, s28, s34
	s_mul_i32 s33, s29, s34
	s_wait_alu 0xfffe
	s_add_nc_u64 s[36:37], s[2:3], s[36:37]
	s_mul_hi_u32 s27, s29, s34
	s_mul_hi_u32 s38, s29, s35
	s_add_co_u32 s2, s36, s33
	s_wait_alu 0xfffe
	s_add_co_ci_u32 s2, s37, s27
	s_mul_i32 s34, s29, s35
	s_add_co_ci_u32 s35, s38, 0
	s_wait_alu 0xfffe
	s_add_nc_u64 s[34:35], s[2:3], s[34:35]
	s_wait_alu 0xfffe
	v_add_co_u32 v4, s2, s28, s34
	s_delay_alu instid0(VALU_DEP_1) | instskip(SKIP_1) | instid1(VALU_DEP_1)
	s_cmp_lg_u32 s2, 0
	s_add_co_ci_u32 s29, s29, s35
	v_readfirstlane_b32 s28, v4
	s_wait_alu 0xfffe
	s_delay_alu instid0(VALU_DEP_1)
	s_mul_u64 s[30:31], s[30:31], s[28:29]
	s_wait_alu 0xfffe
	s_mul_hi_u32 s35, s28, s31
	s_mul_i32 s34, s28, s31
	s_mul_hi_u32 s2, s28, s30
	s_mul_i32 s33, s29, s30
	s_wait_alu 0xfffe
	s_add_nc_u64 s[34:35], s[2:3], s[34:35]
	s_mul_hi_u32 s27, s29, s30
	s_mul_hi_u32 s28, s29, s31
	s_wait_alu 0xfffe
	s_add_co_u32 s2, s34, s33
	s_add_co_ci_u32 s2, s35, s27
	s_mul_i32 s30, s29, s31
	s_add_co_ci_u32 s31, s28, 0
	s_wait_alu 0xfffe
	s_add_nc_u64 s[30:31], s[2:3], s[30:31]
	s_wait_alu 0xfffe
	v_add_co_u32 v4, s2, v4, s30
	s_delay_alu instid0(VALU_DEP_1) | instskip(SKIP_1) | instid1(VALU_DEP_1)
	s_cmp_lg_u32 s2, 0
	s_add_co_ci_u32 s2, s29, s31
	v_mul_hi_u32 v13, v5, v4
	s_wait_alu 0xfffe
	v_mad_co_u64_u32 v[7:8], null, v5, s2, 0
	v_mad_co_u64_u32 v[9:10], null, v6, v4, 0
	;; [unrolled: 1-line block ×3, first 2 shown]
	s_delay_alu instid0(VALU_DEP_3) | instskip(SKIP_1) | instid1(VALU_DEP_4)
	v_add_co_u32 v4, vcc_lo, v13, v7
	s_wait_alu 0xfffd
	v_add_co_ci_u32_e32 v7, vcc_lo, 0, v8, vcc_lo
	s_delay_alu instid0(VALU_DEP_2) | instskip(SKIP_1) | instid1(VALU_DEP_2)
	v_add_co_u32 v4, vcc_lo, v4, v9
	s_wait_alu 0xfffd
	v_add_co_ci_u32_e32 v4, vcc_lo, v7, v10, vcc_lo
	s_wait_alu 0xfffd
	v_add_co_ci_u32_e32 v7, vcc_lo, 0, v12, vcc_lo
	s_delay_alu instid0(VALU_DEP_2) | instskip(SKIP_1) | instid1(VALU_DEP_2)
	v_add_co_u32 v4, vcc_lo, v4, v11
	s_wait_alu 0xfffd
	v_add_co_ci_u32_e32 v9, vcc_lo, 0, v7, vcc_lo
	s_delay_alu instid0(VALU_DEP_2) | instskip(SKIP_1) | instid1(VALU_DEP_3)
	v_mul_lo_u32 v10, s25, v4
	v_mad_co_u64_u32 v[7:8], null, s24, v4, 0
	v_mul_lo_u32 v11, s24, v9
	s_delay_alu instid0(VALU_DEP_2) | instskip(NEXT) | instid1(VALU_DEP_2)
	v_sub_co_u32 v7, vcc_lo, v5, v7
	v_add3_u32 v8, v8, v11, v10
	s_delay_alu instid0(VALU_DEP_1) | instskip(SKIP_1) | instid1(VALU_DEP_1)
	v_sub_nc_u32_e32 v10, v6, v8
	s_wait_alu 0xfffd
	v_subrev_co_ci_u32_e64 v10, s2, s25, v10, vcc_lo
	v_add_co_u32 v11, s2, v4, 2
	s_wait_alu 0xf1ff
	v_add_co_ci_u32_e64 v12, s2, 0, v9, s2
	v_sub_co_u32 v13, s2, v7, s24
	v_sub_co_ci_u32_e32 v8, vcc_lo, v6, v8, vcc_lo
	s_wait_alu 0xf1ff
	v_subrev_co_ci_u32_e64 v10, s2, 0, v10, s2
	s_delay_alu instid0(VALU_DEP_3) | instskip(NEXT) | instid1(VALU_DEP_3)
	v_cmp_le_u32_e32 vcc_lo, s24, v13
	v_cmp_eq_u32_e64 s2, s25, v8
	s_wait_alu 0xfffd
	v_cndmask_b32_e64 v13, 0, -1, vcc_lo
	v_cmp_le_u32_e32 vcc_lo, s25, v10
	s_wait_alu 0xfffd
	v_cndmask_b32_e64 v14, 0, -1, vcc_lo
	v_cmp_le_u32_e32 vcc_lo, s24, v7
	;; [unrolled: 3-line block ×3, first 2 shown]
	s_wait_alu 0xfffd
	v_cndmask_b32_e64 v15, 0, -1, vcc_lo
	v_cmp_eq_u32_e32 vcc_lo, s25, v10
	s_wait_alu 0xf1ff
	s_delay_alu instid0(VALU_DEP_2)
	v_cndmask_b32_e64 v7, v15, v7, s2
	s_wait_alu 0xfffd
	v_cndmask_b32_e32 v10, v14, v13, vcc_lo
	v_add_co_u32 v13, vcc_lo, v4, 1
	s_wait_alu 0xfffd
	v_add_co_ci_u32_e32 v14, vcc_lo, 0, v9, vcc_lo
	s_delay_alu instid0(VALU_DEP_3) | instskip(SKIP_1) | instid1(VALU_DEP_2)
	v_cmp_ne_u32_e32 vcc_lo, 0, v10
	s_wait_alu 0xfffd
	v_cndmask_b32_e32 v8, v14, v12, vcc_lo
	v_cndmask_b32_e32 v10, v13, v11, vcc_lo
	v_cmp_ne_u32_e32 vcc_lo, 0, v7
	s_wait_alu 0xfffd
	s_delay_alu instid0(VALU_DEP_2)
	v_dual_cndmask_b32 v131, v9, v8 :: v_dual_cndmask_b32 v130, v4, v10
.LBB0_4:                                ;   in Loop: Header=BB0_2 Depth=1
	s_wait_alu 0xfffe
	s_and_not1_saveexec_b32 s2, s26
	s_cbranch_execz .LBB0_6
; %bb.5:                                ;   in Loop: Header=BB0_2 Depth=1
	v_cvt_f32_u32_e32 v4, s24
	s_sub_co_i32 s26, 0, s24
	v_mov_b32_e32 v131, v3
	s_delay_alu instid0(VALU_DEP_2) | instskip(NEXT) | instid1(TRANS32_DEP_1)
	v_rcp_iflag_f32_e32 v4, v4
	v_mul_f32_e32 v4, 0x4f7ffffe, v4
	s_delay_alu instid0(VALU_DEP_1) | instskip(SKIP_1) | instid1(VALU_DEP_1)
	v_cvt_u32_f32_e32 v4, v4
	s_wait_alu 0xfffe
	v_mul_lo_u32 v7, s26, v4
	s_delay_alu instid0(VALU_DEP_1) | instskip(NEXT) | instid1(VALU_DEP_1)
	v_mul_hi_u32 v7, v4, v7
	v_add_nc_u32_e32 v4, v4, v7
	s_delay_alu instid0(VALU_DEP_1) | instskip(NEXT) | instid1(VALU_DEP_1)
	v_mul_hi_u32 v4, v5, v4
	v_mul_lo_u32 v7, v4, s24
	v_add_nc_u32_e32 v8, 1, v4
	s_delay_alu instid0(VALU_DEP_2) | instskip(NEXT) | instid1(VALU_DEP_1)
	v_sub_nc_u32_e32 v7, v5, v7
	v_subrev_nc_u32_e32 v9, s24, v7
	v_cmp_le_u32_e32 vcc_lo, s24, v7
	s_wait_alu 0xfffd
	s_delay_alu instid0(VALU_DEP_2) | instskip(NEXT) | instid1(VALU_DEP_1)
	v_dual_cndmask_b32 v7, v7, v9 :: v_dual_cndmask_b32 v4, v4, v8
	v_cmp_le_u32_e32 vcc_lo, s24, v7
	s_delay_alu instid0(VALU_DEP_2) | instskip(SKIP_1) | instid1(VALU_DEP_1)
	v_add_nc_u32_e32 v8, 1, v4
	s_wait_alu 0xfffd
	v_cndmask_b32_e32 v130, v4, v8, vcc_lo
.LBB0_6:                                ;   in Loop: Header=BB0_2 Depth=1
	s_wait_alu 0xfffe
	s_or_b32 exec_lo, exec_lo, s2
	v_mul_lo_u32 v4, v131, s24
	s_delay_alu instid0(VALU_DEP_2)
	v_mul_lo_u32 v9, v130, s25
	s_load_b64 s[26:27], s[18:19], 0x0
	v_mad_co_u64_u32 v[7:8], null, v130, s24, 0
	s_load_b64 s[24:25], s[16:17], 0x0
	s_add_nc_u64 s[20:21], s[20:21], 1
	s_add_nc_u64 s[16:17], s[16:17], 8
	s_wait_alu 0xfffe
	v_cmp_ge_u64_e64 s2, s[20:21], s[10:11]
	s_add_nc_u64 s[18:19], s[18:19], 8
	s_add_nc_u64 s[22:23], s[22:23], 8
	v_add3_u32 v4, v8, v9, v4
	v_sub_co_u32 v5, vcc_lo, v5, v7
	s_wait_alu 0xfffd
	s_delay_alu instid0(VALU_DEP_2) | instskip(SKIP_2) | instid1(VALU_DEP_1)
	v_sub_co_ci_u32_e32 v4, vcc_lo, v6, v4, vcc_lo
	s_and_b32 vcc_lo, exec_lo, s2
	s_wait_kmcnt 0x0
	v_mul_lo_u32 v6, s26, v4
	v_mul_lo_u32 v7, s27, v5
	v_mad_co_u64_u32 v[1:2], null, s26, v5, v[1:2]
	v_mul_lo_u32 v4, s24, v4
	v_mul_lo_u32 v8, s25, v5
	v_mad_co_u64_u32 v[124:125], null, s24, v5, v[124:125]
	s_delay_alu instid0(VALU_DEP_4) | instskip(NEXT) | instid1(VALU_DEP_2)
	v_add3_u32 v2, v7, v2, v6
	v_add3_u32 v125, v8, v125, v4
	s_wait_alu 0xfffe
	s_cbranch_vccnz .LBB0_9
; %bb.7:                                ;   in Loop: Header=BB0_2 Depth=1
	v_dual_mov_b32 v5, v130 :: v_dual_mov_b32 v6, v131
	s_branch .LBB0_2
.LBB0_8:
	v_dual_mov_b32 v125, v2 :: v_dual_mov_b32 v124, v1
	v_dual_mov_b32 v131, v6 :: v_dual_mov_b32 v130, v5
.LBB0_9:
	s_load_b64 s[0:1], s[0:1], 0x28
	v_mul_hi_u32 v3, 0x4104105, v0
	s_lshl_b64 s[10:11], s[10:11], 3
                                        ; implicit-def: $vgpr126
                                        ; implicit-def: $vgpr128
                                        ; implicit-def: $vgpr139
                                        ; implicit-def: $vgpr138
                                        ; implicit-def: $vgpr137
                                        ; implicit-def: $vgpr136
                                        ; implicit-def: $vgpr135
                                        ; implicit-def: $vgpr134
                                        ; implicit-def: $vgpr133
                                        ; implicit-def: $vgpr132
	s_wait_kmcnt 0x0
	v_cmp_gt_u64_e32 vcc_lo, s[0:1], v[130:131]
	v_cmp_le_u64_e64 s0, s[0:1], v[130:131]
	s_delay_alu instid0(VALU_DEP_1)
	s_and_saveexec_b32 s1, s0
	s_wait_alu 0xfffe
	s_xor_b32 s0, exec_lo, s1
; %bb.10:
	v_mul_u32_u24_e32 v1, 63, v3
                                        ; implicit-def: $vgpr3
	s_delay_alu instid0(VALU_DEP_1) | instskip(NEXT) | instid1(VALU_DEP_1)
	v_sub_nc_u32_e32 v126, v0, v1
                                        ; implicit-def: $vgpr0
                                        ; implicit-def: $vgpr1_vgpr2
	v_add_nc_u32_e32 v128, 63, v126
	v_add_nc_u32_e32 v139, 0x7e, v126
	;; [unrolled: 1-line block ×9, first 2 shown]
; %bb.11:
	s_wait_alu 0xfffe
	s_or_saveexec_b32 s1, s0
	s_add_nc_u64 s[2:3], s[14:15], s[10:11]
	s_wait_alu 0xfffe
	s_xor_b32 exec_lo, exec_lo, s1
	s_cbranch_execz .LBB0_13
; %bb.12:
	s_add_nc_u64 s[10:11], s[12:13], s[10:11]
	v_lshlrev_b64_e32 v[1:2], 4, v[1:2]
	s_load_b64 s[10:11], s[10:11], 0x0
	s_wait_kmcnt 0x0
	v_mul_lo_u32 v6, s11, v130
	v_mul_lo_u32 v7, s10, v131
	v_mad_co_u64_u32 v[4:5], null, s10, v130, 0
	s_delay_alu instid0(VALU_DEP_1) | instskip(SKIP_1) | instid1(VALU_DEP_2)
	v_add3_u32 v5, v5, v7, v6
	v_mul_u32_u24_e32 v6, 63, v3
	v_lshlrev_b64_e32 v[3:4], 4, v[4:5]
	s_delay_alu instid0(VALU_DEP_2) | instskip(NEXT) | instid1(VALU_DEP_1)
	v_sub_nc_u32_e32 v126, v0, v6
	v_lshlrev_b32_e32 v80, 4, v126
	s_delay_alu instid0(VALU_DEP_3) | instskip(SKIP_1) | instid1(VALU_DEP_4)
	v_add_co_u32 v0, s0, s4, v3
	s_wait_alu 0xf1ff
	v_add_co_ci_u32_e64 v3, s0, s5, v4, s0
	v_add_nc_u32_e32 v128, 63, v126
	s_delay_alu instid0(VALU_DEP_3) | instskip(SKIP_1) | instid1(VALU_DEP_3)
	v_add_co_u32 v0, s0, v0, v1
	s_wait_alu 0xf1ff
	v_add_co_ci_u32_e64 v1, s0, v3, v2, s0
	v_add_nc_u32_e32 v139, 0x7e, v126
	s_delay_alu instid0(VALU_DEP_3) | instskip(SKIP_1) | instid1(VALU_DEP_3)
	v_add_co_u32 v76, s0, v0, v80
	s_wait_alu 0xf1ff
	v_add_co_ci_u32_e64 v77, s0, 0, v1, s0
	s_clause 0x13
	global_load_b128 v[0:3], v[76:77], off
	global_load_b128 v[4:7], v[76:77], off offset:1008
	global_load_b128 v[8:11], v[76:77], off offset:2016
	;; [unrolled: 1-line block ×19, first 2 shown]
	v_add_nc_u32_e32 v138, 0xbd, v126
	v_add_nc_u32_e32 v137, 0xfc, v126
	;; [unrolled: 1-line block ×8, first 2 shown]
	s_wait_loadcnt 0x13
	ds_store_b128 v80, v[0:3]
	s_wait_loadcnt 0x12
	ds_store_b128 v80, v[4:7] offset:1008
	s_wait_loadcnt 0x11
	ds_store_b128 v80, v[8:11] offset:2016
	;; [unrolled: 2-line block ×19, first 2 shown]
.LBB0_13:
	s_or_b32 exec_lo, exec_lo, s1
	v_lshlrev_b32_e32 v127, 4, v126
	s_load_b64 s[2:3], s[2:3], 0x0
	global_wb scope:SCOPE_SE
	s_wait_dscnt 0x0
	s_wait_kmcnt 0x0
	s_barrier_signal -1
	s_barrier_wait -1
	v_add_nc_u32_e32 v180, 0, v127
	global_inv scope:SCOPE_SE
	v_lshl_add_u32 v85, v138, 5, 0
	v_lshl_add_u32 v86, v137, 5, 0
	;; [unrolled: 1-line block ×3, first 2 shown]
	ds_load_b128 v[0:3], v180 offset:10080
	ds_load_b128 v[4:7], v180
	ds_load_b128 v[8:11], v180 offset:1008
	ds_load_b128 v[12:15], v180 offset:11088
	;; [unrolled: 1-line block ×18, first 2 shown]
	v_add_nc_u32_e32 v83, v180, v127
	s_wait_dscnt 0x12
	v_add_f64_e64 v[0:1], v[4:5], -v[0:1]
	v_add_f64_e64 v[2:3], v[6:7], -v[2:3]
	s_wait_dscnt 0x10
	v_add_f64_e64 v[12:13], v[8:9], -v[12:13]
	v_add_f64_e64 v[14:15], v[10:11], -v[14:15]
	;; [unrolled: 3-line block ×10, first 2 shown]
	v_lshl_add_u32 v80, v135, 5, 0
	v_lshl_add_u32 v182, v134, 5, 0
	;; [unrolled: 1-line block ×4, first 2 shown]
	global_wb scope:SCOPE_SE
	s_barrier_signal -1
	s_barrier_wait -1
	global_inv scope:SCOPE_SE
	v_and_b32_e32 v120, 1, v134
	v_lshl_add_u32 v183, v128, 4, 0
	v_lshl_add_u32 v184, v139, 4, 0
	v_lshlrev_b32_e32 v121, 4, v135
	v_lshlrev_b32_e32 v129, 4, v134
	v_lshlrev_b32_e32 v186, 4, v132
	v_cmp_gt_u32_e64 s0, 42, v126
	v_fma_f64 v[88:89], v[4:5], 2.0, -v[0:1]
	v_fma_f64 v[90:91], v[6:7], 2.0, -v[2:3]
	;; [unrolled: 1-line block ×20, first 2 shown]
	v_and_b32_e32 v5, 1, v126
	v_and_b32_e32 v4, 1, v128
	v_lshl_add_u32 v10, v128, 5, 0
	v_lshl_add_u32 v11, v139, 5, 0
	ds_store_b128 v83, v[88:91]
	ds_store_b128 v83, v[0:3] offset:16
	ds_store_b128 v10, v[6:9]
	ds_store_b128 v10, v[12:15] offset:16
	;; [unrolled: 2-line block ×10, first 2 shown]
	v_lshlrev_b32_e32 v82, 4, v5
	v_and_b32_e32 v79, 1, v138
	v_and_b32_e32 v83, 1, v136
	v_lshlrev_b32_e32 v81, 4, v4
	global_wb scope:SCOPE_SE
	s_wait_dscnt 0x0
	s_barrier_signal -1
	s_barrier_wait -1
	global_inv scope:SCOPE_SE
	s_clause 0x1
	global_load_b128 v[0:3], v82, s[8:9]
	global_load_b128 v[7:10], v81, s[8:9]
	v_lshlrev_b32_e32 v6, 4, v79
	v_lshlrev_b32_e32 v15, 4, v83
	;; [unrolled: 1-line block ×5, first 2 shown]
	s_clause 0x1
	global_load_b128 v[11:14], v6, s[8:9]
	global_load_b128 v[15:18], v15, s[8:9]
	v_and_b32_e32 v6, 1, v132
	v_lshlrev_b32_e32 v91, 4, v136
	v_sub_nc_u32_e32 v122, v85, v89
	v_sub_nc_u32_e32 v123, v86, v90
	v_lshlrev_b32_e32 v88, 4, v133
	v_lshlrev_b32_e32 v23, 4, v6
	s_clause 0x1
	global_load_b128 v[19:22], v19, s[8:9]
	global_load_b128 v[23:26], v23, s[8:9]
	ds_load_b128 v[27:30], v180 offset:10080
	ds_load_b128 v[31:34], v180 offset:11088
	;; [unrolled: 1-line block ×9, first 2 shown]
	ds_load_b128 v[63:66], v180
	ds_load_b128 v[67:70], v180 offset:19152
	ds_load_b128 v[71:74], v183
	v_sub_nc_u32_e32 v140, v87, v91
	s_wait_loadcnt_dscnt 0x50b
	v_mul_f64_e32 v[75:76], v[29:30], v[2:3]
	v_mul_f64_e32 v[77:78], v[27:28], v[2:3]
	s_wait_loadcnt_dscnt 0x40a
	v_mul_f64_e32 v[81:82], v[33:34], v[9:10]
	v_mul_f64_e32 v[9:10], v[31:32], v[9:10]
	s_wait_dscnt 0x9
	v_mul_f64_e32 v[92:93], v[37:38], v[2:3]
	v_mul_f64_e32 v[94:95], v[35:36], v[2:3]
	s_wait_dscnt 0x7
	v_mul_f64_e32 v[98:99], v[45:46], v[2:3]
	s_wait_loadcnt 0x3
	v_mul_f64_e32 v[96:97], v[41:42], v[13:14]
	v_mul_f64_e32 v[13:14], v[39:40], v[13:14]
	;; [unrolled: 1-line block ×3, first 2 shown]
	s_wait_loadcnt_dscnt 0x206
	v_mul_f64_e32 v[102:103], v[49:50], v[17:18]
	v_mul_f64_e32 v[17:18], v[47:48], v[17:18]
	s_wait_dscnt 0x5
	v_mul_f64_e32 v[104:105], v[53:54], v[2:3]
	v_mul_f64_e32 v[106:107], v[51:52], v[2:3]
	s_wait_dscnt 0x3
	v_mul_f64_e32 v[110:111], v[61:62], v[2:3]
	v_mul_f64_e32 v[2:3], v[59:60], v[2:3]
	s_wait_loadcnt 0x1
	v_mul_f64_e32 v[108:109], v[57:58], v[21:22]
	v_mul_f64_e32 v[21:22], v[55:56], v[21:22]
	s_wait_loadcnt_dscnt 0x1
	v_mul_f64_e32 v[112:113], v[69:70], v[25:26]
	v_mul_f64_e32 v[25:26], v[67:68], v[25:26]
	v_fma_f64 v[27:28], v[27:28], v[0:1], v[75:76]
	v_fma_f64 v[29:30], v[29:30], v[0:1], -v[77:78]
	v_fma_f64 v[75:76], v[31:32], v[7:8], v[81:82]
	v_fma_f64 v[77:78], v[33:34], v[7:8], -v[9:10]
	;; [unrolled: 2-line block ×3, first 2 shown]
	v_fma_f64 v[98:99], v[43:44], v[0:1], v[98:99]
	v_fma_f64 v[94:95], v[39:40], v[11:12], v[96:97]
	v_fma_f64 v[96:97], v[41:42], v[11:12], -v[13:14]
	v_fma_f64 v[100:101], v[45:46], v[0:1], -v[100:101]
	v_fma_f64 v[102:103], v[47:48], v[15:16], v[102:103]
	v_fma_f64 v[114:115], v[49:50], v[15:16], -v[17:18]
	v_fma_f64 v[104:105], v[51:52], v[0:1], v[104:105]
	;; [unrolled: 2-line block ×3, first 2 shown]
	v_fma_f64 v[60:61], v[61:62], v[0:1], -v[2:3]
	ds_load_b128 v[0:3], v184
	v_fma_f64 v[108:109], v[55:56], v[19:20], v[108:109]
	v_fma_f64 v[116:117], v[57:58], v[19:20], -v[21:22]
	v_fma_f64 v[112:113], v[67:68], v[23:24], v[112:113]
	v_fma_f64 v[118:119], v[69:70], v[23:24], -v[25:26]
	ds_load_b128 v[7:10], v122
	v_sub_nc_u32_e32 v19, v80, v121
	ds_load_b128 v[11:14], v123
	ds_load_b128 v[15:18], v140
	v_sub_nc_u32_e32 v23, v182, v129
	v_sub_nc_u32_e32 v31, v84, v88
	ds_load_b128 v[19:22], v19
	v_sub_nc_u32_e32 v36, v181, v186
	ds_load_b128 v[23:26], v23
	ds_load_b128 v[32:35], v31
	;; [unrolled: 1-line block ×3, first 2 shown]
	v_lshlrev_b32_e32 v62, 1, v138
	global_wb scope:SCOPE_SE
	s_wait_dscnt 0x0
	s_barrier_signal -1
	s_barrier_wait -1
	global_inv scope:SCOPE_SE
	v_and_or_b32 v79, 0x1fc, v62, v79
	v_add_f64_e64 v[40:41], v[63:64], -v[27:28]
	v_add_f64_e64 v[42:43], v[65:66], -v[29:30]
	;; [unrolled: 1-line block ×16, first 2 shown]
	v_lshlrev_b32_e32 v60, 1, v128
	v_add_f64_e64 v[92:93], v[23:24], -v[108:109]
	v_add_f64_e64 v[94:95], v[25:26], -v[116:117]
	;; [unrolled: 1-line block ×4, first 2 shown]
	v_lshlrev_b32_e32 v61, 1, v139
	v_and_or_b32 v4, 0xfc, v60, v4
	v_lshlrev_b32_e32 v27, 1, v126
	v_lshlrev_b32_e32 v81, 1, v137
	;; [unrolled: 1-line block ×3, first 2 shown]
	v_and_or_b32 v108, 0x1fc, v61, v5
	v_lshlrev_b32_e32 v104, 1, v134
	v_lshlrev_b32_e32 v105, 1, v135
	;; [unrolled: 1-line block ×4, first 2 shown]
	v_and_or_b32 v27, 0x7c, v27, v5
	v_and_or_b32 v81, 0x3fc, v81, v5
	v_lshl_add_u32 v4, v4, 4, 0
	s_delay_alu instid0(VALU_DEP_4) | instskip(NEXT) | instid1(VALU_DEP_4)
	v_and_or_b32 v6, 0x4fc, v107, v6
	v_lshl_add_u32 v27, v27, 4, 0
	v_fma_f64 v[60:61], v[63:64], 2.0, -v[40:41]
	v_fma_f64 v[62:63], v[65:66], 2.0, -v[42:43]
	;; [unrolled: 1-line block ×16, first 2 shown]
	v_lshl_add_u32 v64, v79, 4, 0
	v_fma_f64 v[23:24], v[23:24], 2.0, -v[92:93]
	v_fma_f64 v[25:26], v[25:26], 2.0, -v[94:95]
	;; [unrolled: 1-line block ×4, first 2 shown]
	v_and_or_b32 v36, 0x2fc, v82, v83
	v_and_or_b32 v37, 0x3fc, v104, v120
	;; [unrolled: 1-line block ×4, first 2 shown]
	v_lshl_add_u32 v39, v108, 4, 0
	v_lshl_add_u32 v65, v81, 4, 0
	;; [unrolled: 1-line block ×7, first 2 shown]
	ds_store_b128 v27, v[60:63]
	ds_store_b128 v27, v[40:43] offset:32
	ds_store_b128 v4, v[71:74]
	ds_store_b128 v4, v[44:47] offset:32
	;; [unrolled: 2-line block ×10, first 2 shown]
	global_wb scope:SCOPE_SE
	s_wait_dscnt 0x0
	s_barrier_signal -1
	s_barrier_wait -1
	global_inv scope:SCOPE_SE
	ds_load_b128 v[20:23], v180
	ds_load_b128 v[60:63], v180 offset:6720
	ds_load_b128 v[72:75], v180 offset:7728
	ds_load_b128 v[36:39], v180 offset:8736
	ds_load_b128 v[64:67], v180 offset:14448
	ds_load_b128 v[40:43], v180 offset:15456
	ds_load_b128 v[16:19], v184
	ds_load_b128 v[12:15], v122
	ds_load_b128 v[56:59], v180 offset:9744
	ds_load_b128 v[32:35], v180 offset:10752
	ds_load_b128 v[8:11], v123
	ds_load_b128 v[4:7], v140
	ds_load_b128 v[68:71], v180 offset:16464
	ds_load_b128 v[44:47], v180 offset:17472
	;; [unrolled: 1-line block ×4, first 2 shown]
	ds_load_b128 v[24:27], v183
	ds_load_b128 v[52:55], v180 offset:18480
	v_sub_nc_u32_e32 v81, 0, v121
                                        ; implicit-def: $vgpr82_vgpr83
	s_delay_alu instid0(VALU_DEP_1)
	v_add_nc_u32_e32 v185, v80, v81
	s_and_saveexec_b32 s1, s0
	s_cbranch_execz .LBB0_15
; %bb.14:
	ds_load_b128 v[0:3], v185
	ds_load_b128 v[28:31], v180 offset:12768
	ds_load_b128 v[80:83], v180 offset:19488
.LBB0_15:
	s_wait_alu 0xfffe
	s_or_b32 exec_lo, exec_lo, s1
	v_and_b32_e32 v92, 3, v128
	v_and_b32_e32 v93, 3, v126
	;; [unrolled: 1-line block ×4, first 2 shown]
	s_mov_b32 s4, 0xe8584caa
	v_lshlrev_b32_e32 v96, 5, v92
	v_lshlrev_b32_e32 v97, 5, v93
	;; [unrolled: 1-line block ×4, first 2 shown]
	s_mov_b32 s5, 0xbfebb67a
	s_clause 0x3
	global_load_b128 v[98:101], v96, s[8:9] offset:32
	global_load_b128 v[102:105], v96, s[8:9] offset:48
	;; [unrolled: 1-line block ×4, first 2 shown]
	v_and_b32_e32 v97, 3, v136
	v_and_b32_e32 v96, 3, v135
	s_clause 0x3
	global_load_b128 v[114:117], v118, s[8:9] offset:32
	global_load_b128 v[118:121], v118, s[8:9] offset:48
	;; [unrolled: 1-line block ×4, first 2 shown]
	v_lshlrev_b32_e32 v122, 5, v97
	v_lshlrev_b32_e32 v123, 5, v96
	s_mov_b32 s11, 0x3febb67a
	s_clause 0x3
	global_load_b128 v[148:151], v122, s[8:9] offset:32
	global_load_b128 v[152:155], v122, s[8:9] offset:48
	;; [unrolled: 1-line block ×4, first 2 shown]
	s_wait_alu 0xfffe
	s_mov_b32 s10, s4
	global_wb scope:SCOPE_SE
	s_wait_loadcnt_dscnt 0x0
	s_barrier_signal -1
	s_barrier_wait -1
	global_inv scope:SCOPE_SE
	v_mul_f64_e32 v[164:165], v[66:67], v[104:105]
	v_mul_f64_e32 v[122:123], v[74:75], v[100:101]
	;; [unrolled: 1-line block ×28, first 2 shown]
	v_fma_f64 v[64:65], v[64:65], v[102:103], v[164:165]
	v_fma_f64 v[72:73], v[72:73], v[98:99], v[122:123]
	v_fma_f64 v[74:75], v[74:75], v[98:99], -v[100:101]
	v_fma_f64 v[60:61], v[60:61], v[106:107], v[166:167]
	v_fma_f64 v[76:77], v[76:77], v[110:111], v[168:169]
	v_fma_f64 v[62:63], v[62:63], v[106:107], -v[170:171]
	v_fma_f64 v[78:79], v[78:79], v[110:111], -v[172:173]
	v_fma_f64 v[98:99], v[36:37], v[114:115], v[174:175]
	v_fma_f64 v[37:38], v[38:39], v[114:115], -v[116:117]
	v_fma_f64 v[39:40], v[40:41], v[118:119], v[176:177]
	;; [unrolled: 2-line block ×5, first 2 shown]
	v_fma_f64 v[100:101], v[52:53], v[152:153], v[195:196]
	v_fma_f64 v[28:29], v[28:29], v[156:157], v[197:198]
	v_fma_f64 v[30:31], v[30:31], v[156:157], -v[158:159]
	v_fma_f64 v[80:81], v[80:81], v[160:161], v[199:200]
	v_fma_f64 v[82:83], v[82:83], v[160:161], -v[162:163]
	v_fma_f64 v[66:67], v[66:67], v[102:103], -v[104:105]
	v_fma_f64 v[56:57], v[56:57], v[140:141], v[178:179]
	v_fma_f64 v[58:59], v[58:59], v[140:141], -v[142:143]
	v_fma_f64 v[68:69], v[68:69], v[144:145], v[187:188]
	v_fma_f64 v[70:71], v[70:71], v[144:145], -v[146:147]
	v_fma_f64 v[49:50], v[50:51], v[148:149], -v[150:151]
	;; [unrolled: 1-line block ×3, first 2 shown]
	v_sub_nc_u32_e32 v36, 0, v89
	v_sub_nc_u32_e32 v53, 0, v90
	v_lshrrev_b32_e32 v112, 2, v139
	v_sub_nc_u32_e32 v52, 0, v91
	v_lshrrev_b32_e32 v51, 2, v126
	v_lshrrev_b32_e32 v91, 2, v128
	;; [unrolled: 1-line block ×3, first 2 shown]
	v_mul_lo_u32 v190, v112, 12
	v_lshrrev_b32_e32 v188, 2, v137
	v_lshrrev_b32_e32 v189, 2, v136
	v_mul_u32_u24_e32 v51, 12, v51
	v_add_f64_e32 v[104:105], v[72:73], v[64:65]
	v_add_f64_e32 v[148:149], v[24:25], v[72:73]
	;; [unrolled: 1-line block ×6, first 2 shown]
	v_add_f64_e64 v[60:61], v[60:61], -v[76:77]
	v_add_f64_e32 v[150:151], v[26:27], v[74:75]
	v_add_f64_e32 v[108:109], v[98:99], v[39:40]
	v_add_f64_e32 v[110:111], v[37:38], v[41:42]
	v_add_f64_e32 v[152:153], v[16:17], v[98:99]
	v_add_f64_e32 v[160:161], v[8:9], v[32:33]
	v_add_f64_e32 v[120:121], v[32:33], v[43:44]
	v_add_f64_e32 v[122:123], v[34:35], v[45:46]
	v_add_f64_e32 v[162:163], v[10:11], v[34:35]
	v_add_f64_e32 v[140:141], v[47:48], v[100:101]
	v_add_f64_e32 v[168:169], v[0:1], v[28:29]
	v_add_f64_e32 v[170:171], v[2:3], v[30:31]
	v_add_f64_e32 v[144:145], v[28:29], v[80:81]
	v_add_f64_e32 v[146:147], v[30:31], v[82:83]
	v_add_f64_e32 v[106:107], v[74:75], v[66:67]
	v_add_f64_e64 v[74:75], v[74:75], -v[66:67]
	v_add_f64_e64 v[98:99], v[98:99], -v[39:40]
	v_add_f64_e32 v[112:113], v[56:57], v[68:69]
	v_add_f64_e32 v[116:117], v[58:59], v[70:71]
	v_add_f64_e32 v[166:167], v[6:7], v[49:50]
	v_add_f64_e32 v[142:143], v[49:50], v[54:55]
	v_add_f64_e64 v[34:35], v[34:35], -v[45:46]
	v_add_f64_e64 v[32:33], v[32:33], -v[43:44]
	;; [unrolled: 1-line block ×6, first 2 shown]
	v_add_f64_e32 v[154:155], v[18:19], v[37:38]
	v_add_f64_e32 v[158:159], v[14:15], v[58:59]
	v_add_f64_e64 v[72:73], v[72:73], -v[64:65]
	v_add_f64_e64 v[174:175], v[58:59], -v[70:71]
	;; [unrolled: 1-line block ×3, first 2 shown]
	v_fma_f64 v[104:105], v[104:105], -0.5, v[24:25]
	v_add_f64_e32 v[156:157], v[12:13], v[56:57]
	v_add_f64_e32 v[164:165], v[4:5], v[47:48]
	v_fma_f64 v[89:90], v[89:90], -0.5, v[20:21]
	v_add_f64_e64 v[176:177], v[47:48], -v[100:101]
	v_fma_f64 v[102:103], v[102:103], -0.5, v[22:23]
	v_mul_lo_u32 v91, v91, 12
	v_or_b32_e32 v51, v51, v93
	v_fma_f64 v[108:109], v[108:109], -0.5, v[16:17]
	v_fma_f64 v[110:111], v[110:111], -0.5, v[18:19]
	v_add_f64_e32 v[20:21], v[160:161], v[43:44]
	v_fma_f64 v[120:121], v[120:121], -0.5, v[8:9]
	v_fma_f64 v[122:123], v[122:123], -0.5, v[10:11]
	v_add_f64_e32 v[10:11], v[118:119], v[78:79]
	v_fma_f64 v[28:29], v[140:141], -0.5, v[4:5]
	v_add_f64_e32 v[8:9], v[114:115], v[76:77]
	v_add_f64_e32 v[22:23], v[162:163], v[45:46]
	v_fma_f64 v[118:119], v[144:145], -0.5, v[0:1]
	v_fma_f64 v[140:141], v[146:147], -0.5, v[2:3]
	;; [unrolled: 1-line block ×3, first 2 shown]
	v_add_f64_e64 v[106:107], v[56:57], -v[68:69]
	v_add_f64_e32 v[0:1], v[148:149], v[64:65]
	v_fma_f64 v[112:113], v[112:113], -0.5, v[12:13]
	v_fma_f64 v[116:117], v[116:117], -0.5, v[14:15]
	v_add_f64_e32 v[12:13], v[152:153], v[39:40]
	v_fma_f64 v[114:115], v[142:143], -0.5, v[6:7]
	v_add_f64_e32 v[26:27], v[166:167], v[54:55]
	v_add_f64_e32 v[4:5], v[168:169], v[80:81]
	;; [unrolled: 1-line block ×4, first 2 shown]
	v_mul_lo_u32 v82, v189, 12
	v_or_b32_e32 v83, v91, v92
	v_add_f64_e32 v[14:15], v[154:155], v[41:42]
	v_add_f64_e32 v[18:19], v[158:159], v[70:71]
	v_lshl_add_u32 v51, v51, 4, 0
	s_delay_alu instid0(VALU_DEP_4)
	v_lshl_add_u32 v83, v83, 4, 0
	v_fma_f64 v[45:46], v[74:75], s[4:5], v[104:105]
	s_wait_alu 0xfffe
	v_fma_f64 v[54:55], v[74:75], s[10:11], v[104:105]
	v_add_f64_e32 v[16:17], v[156:157], v[68:69]
	v_fma_f64 v[37:38], v[62:63], s[4:5], v[89:90]
	v_fma_f64 v[41:42], v[62:63], s[10:11], v[89:90]
	;; [unrolled: 1-line block ×4, first 2 shown]
	v_add_f64_e32 v[24:25], v[164:165], v[100:101]
	v_fma_f64 v[62:63], v[172:173], s[10:11], v[108:109]
	v_fma_f64 v[60:61], v[98:99], s[10:11], v[110:111]
	;; [unrolled: 1-line block ×3, first 2 shown]
	v_or_b32_e32 v89, v190, v94
	v_fma_f64 v[74:75], v[34:35], s[4:5], v[120:121]
	v_fma_f64 v[78:79], v[34:35], s[10:11], v[120:121]
	;; [unrolled: 1-line block ×19, first 2 shown]
	v_mul_lo_u32 v49, v187, 12
	v_mul_lo_u32 v50, v188, 12
	v_or_b32_e32 v82, v82, v97
	v_lshl_add_u32 v89, v89, 4, 0
	s_delay_alu instid0(VALU_DEP_2) | instskip(SKIP_2) | instid1(VALU_DEP_2)
	v_lshl_add_u32 v82, v82, 4, 0
	v_or_b32_e32 v49, v49, v95
	v_or_b32_e32 v50, v50, v93
	v_lshl_add_u32 v49, v49, 4, 0
	s_delay_alu instid0(VALU_DEP_2)
	v_lshl_add_u32 v50, v50, 4, 0
	ds_store_b128 v51, v[8:11]
	ds_store_b128 v51, v[37:40] offset:64
	ds_store_b128 v51, v[41:44] offset:128
	ds_store_b128 v83, v[0:3]
	ds_store_b128 v83, v[45:48] offset:64
	ds_store_b128 v83, v[54:57] offset:128
	;; [unrolled: 3-line block ×6, first 2 shown]
	s_and_saveexec_b32 s1, s0
	s_cbranch_execz .LBB0_17
; %bb.16:
	v_lshrrev_b32_e32 v0, 2, v135
	s_delay_alu instid0(VALU_DEP_1) | instskip(NEXT) | instid1(VALU_DEP_1)
	v_mul_lo_u32 v0, v0, 12
	v_or_b32_e32 v0, v0, v96
	s_delay_alu instid0(VALU_DEP_1)
	v_lshl_add_u32 v0, v0, 4, 0
	ds_store_b128 v0, v[4:7]
	ds_store_b128 v0, v[28:31] offset:64
	ds_store_b128 v0, v[32:35] offset:128
.LBB0_17:
	s_wait_alu 0xfffe
	s_or_b32 exec_lo, exec_lo, s1
	v_add_nc_u32_e32 v188, v86, v53
	global_wb scope:SCOPE_SE
	s_wait_dscnt 0x0
	s_barrier_signal -1
	s_barrier_wait -1
	global_inv scope:SCOPE_SE
	ds_load_b128 v[0:3], v180
	ds_load_b128 v[76:79], v180 offset:6720
	v_add_nc_u32_e32 v189, v85, v36
	ds_load_b128 v[44:47], v180 offset:7728
	ds_load_b128 v[36:39], v180 offset:8736
	ds_load_b128 v[48:51], v180 offset:14448
	ds_load_b128 v[40:43], v180 offset:15456
	ds_load_b128 v[12:15], v184
	ds_load_b128 v[8:11], v189
	v_add_nc_u32_e32 v187, v87, v52
	ds_load_b128 v[68:71], v180 offset:9744
	ds_load_b128 v[52:55], v180 offset:10752
	;; [unrolled: 1-line block ×4, first 2 shown]
	ds_load_b128 v[20:23], v188
	ds_load_b128 v[16:19], v187
	ds_load_b128 v[80:83], v180 offset:13440
	ds_load_b128 v[60:63], v180 offset:11760
	ds_load_b128 v[24:27], v183
	ds_load_b128 v[64:67], v180 offset:18480
	s_and_saveexec_b32 s1, s0
	s_cbranch_execz .LBB0_19
; %bb.18:
	ds_load_b128 v[4:7], v185
	ds_load_b128 v[28:31], v180 offset:12768
	ds_load_b128 v[32:35], v180 offset:19488
.LBB0_19:
	s_wait_alu 0xfffe
	s_or_b32 exec_lo, exec_lo, s1
	v_and_b32_e32 v85, 0xff, v126
	v_and_b32_e32 v87, 0xff, v128
	v_and_b32_e32 v86, 0xff, v139
	v_and_b32_e32 v91, 0xffff, v137
	v_and_b32_e32 v93, 0xffff, v136
	v_mul_lo_u16 v85, 0xab, v85
	v_and_b32_e32 v94, 0xffff, v135
	v_mul_lo_u16 v95, 0xab, v86
	v_mul_u32_u24_e32 v91, 0xaaab, v91
	v_mul_u32_u24_e32 v99, 0xaaab, v93
	v_lshrrev_b16 v90, 11, v85
	s_mov_b32 s10, 0xe8584caa
	v_lshrrev_b16 v196, 11, v95
	v_lshrrev_b32_e32 v198, 19, v91
	v_lshrrev_b32_e32 v199, 19, v99
	v_mul_lo_u16 v85, v90, 12
	s_mov_b32 s11, 0xbfebb67a
	v_mul_lo_u16 v91, v196, 12
	v_mul_lo_u16 v103, v198, 12
	;; [unrolled: 1-line block ×3, first 2 shown]
	v_sub_nc_u16 v89, v126, v85
	v_and_b32_e32 v85, 0xff, v138
	v_sub_nc_u16 v91, v139, v91
	s_mov_b32 s5, 0x3febb67a
	v_sub_nc_u16 v117, v136, v105
	v_and_b32_e32 v92, 0xff, v89
	v_mul_lo_u16 v89, 0xab, v87
	v_mul_lo_u16 v97, 0xab, v85
	v_and_b32_e32 v201, 0xff, v91
	v_and_b32_e32 v204, 0xffff, v117
	v_lshlrev_b32_e32 v98, 5, v92
	v_lshrrev_b16 v123, 11, v89
	v_lshrrev_b16 v197, 11, v97
	v_mul_u32_u24_e32 v89, 0xaaab, v94
	v_lshlrev_b32_e32 v113, 5, v201
	global_load_b128 v[93:96], v98, s[8:9] offset:160
	v_mul_lo_u16 v101, v123, 12
	v_mul_lo_u16 v102, v197, 12
	v_lshrrev_b32_e32 v89, 19, v89
	s_wait_alu 0xfffe
	s_mov_b32 s4, s10
	global_load_b128 v[109:112], v113, s[8:9] offset:160
	v_sub_nc_u16 v101, v128, v101
	global_load_b128 v[113:116], v113, s[8:9] offset:176
	v_mul_lo_u16 v121, v89, 12
	v_and_b32_e32 v200, 0xff, v101
	v_sub_nc_u16 v101, v138, v102
	v_sub_nc_u16 v102, v137, v103
	s_delay_alu instid0(VALU_DEP_4) | instskip(NEXT) | instid1(VALU_DEP_4)
	v_sub_nc_u16 v121, v135, v121
	v_lshlrev_b32_e32 v91, 5, v200
	s_delay_alu instid0(VALU_DEP_4) | instskip(NEXT) | instid1(VALU_DEP_4)
	v_and_b32_e32 v202, 0xff, v101
	v_and_b32_e32 v203, 0xffff, v102
	s_clause 0x1
	global_load_b128 v[101:104], v91, s[8:9] offset:160
	global_load_b128 v[105:108], v91, s[8:9] offset:176
	v_lshlrev_b32_e32 v91, 5, v202
	v_lshlrev_b32_e32 v122, 5, v203
	s_clause 0x4
	global_load_b128 v[117:120], v91, s[8:9] offset:160
	global_load_b128 v[97:100], v98, s[8:9] offset:176
	;; [unrolled: 1-line block ×5, first 2 shown]
	v_and_b32_e32 v91, 0xffff, v121
	v_lshlrev_b32_e32 v122, 5, v204
	s_delay_alu instid0(VALU_DEP_2)
	v_lshlrev_b32_e32 v121, 5, v91
	s_clause 0x3
	global_load_b128 v[152:155], v122, s[8:9] offset:160
	global_load_b128 v[156:159], v122, s[8:9] offset:176
	;; [unrolled: 1-line block ×4, first 2 shown]
	global_wb scope:SCOPE_SE
	s_wait_loadcnt_dscnt 0x0
	s_barrier_signal -1
	s_barrier_wait -1
	global_inv scope:SCOPE_SE
	v_mul_f64_e32 v[121:122], v[78:79], v[95:96]
	v_mul_f64_e32 v[95:96], v[76:77], v[95:96]
	;; [unrolled: 1-line block ×20, first 2 shown]
	v_fma_f64 v[76:77], v[76:77], v[93:94], v[121:122]
	v_fma_f64 v[78:79], v[78:79], v[93:94], -v[95:96]
	v_mul_f64_e32 v[93:94], v[62:63], v[154:155]
	v_mul_f64_e32 v[95:96], v[60:61], v[154:155]
	;; [unrolled: 1-line block ×5, first 2 shown]
	v_fma_f64 v[40:41], v[40:41], v[113:114], v[176:177]
	v_fma_f64 v[42:43], v[42:43], v[113:114], -v[115:116]
	v_fma_f64 v[44:45], v[44:45], v[101:102], v[170:171]
	v_fma_f64 v[46:47], v[46:47], v[101:102], -v[103:104]
	;; [unrolled: 2-line block ×4, first 2 shown]
	v_fma_f64 v[68:69], v[68:69], v[117:118], v[178:179]
	v_fma_f64 v[80:81], v[80:81], v[97:98], v[168:169]
	v_fma_f64 v[82:83], v[82:83], v[97:98], -v[99:100]
	v_mul_f64_e32 v[97:98], v[30:31], v[162:163]
	v_mul_f64_e32 v[99:100], v[28:29], v[162:163]
	;; [unrolled: 1-line block ×3, first 2 shown]
	v_fma_f64 v[70:71], v[70:71], v[117:118], -v[119:120]
	v_fma_f64 v[72:73], v[72:73], v[140:141], v[190:191]
	v_fma_f64 v[74:75], v[74:75], v[140:141], -v[142:143]
	v_fma_f64 v[105:106], v[52:53], v[148:149], v[192:193]
	;; [unrolled: 2-line block ×5, first 2 shown]
	v_fma_f64 v[65:66], v[66:67], v[156:157], -v[154:155]
	v_add_f64_e32 v[117:118], v[0:1], v[76:77]
	v_add_f64_e32 v[121:122], v[2:3], v[78:79]
	v_and_b32_e32 v67, 0xffff, v90
	v_sub_nc_u32_e32 v52, 0, v88
	v_and_b32_e32 v88, 0xffff, v123
	v_and_b32_e32 v90, 0xffff, v196
	;; [unrolled: 1-line block ×3, first 2 shown]
	v_mul_u32_u24_e32 v190, 0x240, v67
	v_mul_u32_u24_e32 v178, 0x240, v198
	;; [unrolled: 1-line block ×3, first 2 shown]
	v_add_f64_e32 v[144:145], v[24:25], v[44:45]
	v_add_f64_e32 v[146:147], v[26:27], v[46:47]
	;; [unrolled: 1-line block ×6, first 2 shown]
	v_add_f64_e64 v[166:167], v[44:45], -v[48:49]
	v_add_f64_e32 v[152:153], v[8:9], v[68:69]
	v_fma_f64 v[36:37], v[28:29], v[160:161], v[97:98]
	v_fma_f64 v[38:39], v[30:31], v[160:161], -v[99:100]
	v_fma_f64 v[28:29], v[32:33], v[164:165], v[158:159]
	v_fma_f64 v[30:31], v[34:35], v[164:165], -v[162:163]
	v_add_f64_e32 v[32:33], v[76:77], v[80:81]
	v_add_f64_e32 v[34:35], v[78:79], v[82:83]
	;; [unrolled: 1-line block ×12, first 2 shown]
	v_add_f64_e64 v[78:79], v[78:79], -v[82:83]
	v_add_f64_e64 v[76:77], v[76:77], -v[80:81]
	v_add_f64_e32 v[158:159], v[22:23], v[53:54]
	v_add_f64_e64 v[164:165], v[46:47], -v[50:51]
	v_add_f64_e32 v[160:161], v[16:17], v[59:60]
	v_add_f64_e32 v[162:163], v[18:19], v[61:62]
	v_add_f64_e64 v[103:104], v[103:104], -v[42:43]
	v_add_f64_e64 v[101:102], v[101:102], -v[40:41]
	;; [unrolled: 1-line block ×8, first 2 shown]
	v_fma_f64 v[93:94], v[93:94], -0.5, v[24:25]
	v_fma_f64 v[95:96], v[95:96], -0.5, v[26:27]
	v_add_f64_e32 v[24:25], v[148:149], v[40:41]
	v_add_f64_e32 v[26:27], v[150:151], v[42:43]
	;; [unrolled: 1-line block ×4, first 2 shown]
	v_fma_f64 v[0:1], v[32:33], -0.5, v[0:1]
	v_fma_f64 v[2:3], v[34:35], -0.5, v[2:3]
	;; [unrolled: 1-line block ×6, first 2 shown]
	v_add_f64_e64 v[10:11], v[38:39], -v[30:31]
	v_add_f64_e64 v[14:15], v[36:37], -v[28:29]
	v_fma_f64 v[111:112], v[111:112], -0.5, v[20:21]
	v_fma_f64 v[113:114], v[113:114], -0.5, v[22:23]
	;; [unrolled: 1-line block ×4, first 2 shown]
	v_add_f64_e32 v[16:17], v[117:118], v[80:81]
	v_add_f64_e32 v[18:19], v[121:122], v[82:83]
	;; [unrolled: 1-line block ×10, first 2 shown]
	v_mul_u32_u24_e32 v81, 0x240, v88
	v_lshlrev_b32_e32 v88, 4, v92
	v_mul_u32_u24_e32 v82, 0x240, v90
	v_lshlrev_b32_e32 v90, 4, v200
	;; [unrolled: 2-line block ×3, first 2 shown]
	v_fma_f64 v[57:58], v[164:165], s[10:11], v[93:94]
	s_wait_alu 0xfffe
	v_fma_f64 v[59:60], v[166:167], s[4:5], v[95:96]
	v_fma_f64 v[61:62], v[164:165], s[4:5], v[93:94]
	;; [unrolled: 1-line block ×3, first 2 shown]
	v_add3_u32 v88, 0, v190, v88
	v_add3_u32 v81, 0, v81, v90
	;; [unrolled: 1-line block ×3, first 2 shown]
	v_fma_f64 v[8:9], v[140:141], -0.5, v[4:5]
	v_fma_f64 v[12:13], v[142:143], -0.5, v[6:7]
	v_fma_f64 v[48:49], v[78:79], s[10:11], v[0:1]
	v_fma_f64 v[53:54], v[78:79], s[4:5], v[0:1]
	;; [unrolled: 1-line block ×20, first 2 shown]
	v_lshlrev_b32_e32 v109, 4, v202
	v_lshlrev_b32_e32 v110, 4, v203
	;; [unrolled: 1-line block ×3, first 2 shown]
	s_delay_alu instid0(VALU_DEP_3) | instskip(NEXT) | instid1(VALU_DEP_3)
	v_add3_u32 v83, 0, v83, v109
	v_add3_u32 v90, 0, v178, v110
	s_delay_alu instid0(VALU_DEP_3)
	v_add3_u32 v92, 0, v179, v111
	ds_store_b128 v88, v[16:19]
	ds_store_b128 v88, v[48:51] offset:192
	ds_store_b128 v88, v[53:56] offset:384
	ds_store_b128 v81, v[20:23]
	ds_store_b128 v81, v[57:60] offset:192
	ds_store_b128 v81, v[61:64] offset:384
	ds_store_b128 v82, v[24:27]
	ds_store_b128 v82, v[65:68] offset:192
	ds_store_b128 v82, v[69:72] offset:384
	ds_store_b128 v83, v[32:35]
	ds_store_b128 v83, v[73:76] offset:192
	ds_store_b128 v83, v[77:80] offset:384
	ds_store_b128 v90, v[40:43]
	ds_store_b128 v90, v[93:96] offset:192
	ds_store_b128 v90, v[97:100] offset:384
	ds_store_b128 v92, v[44:47]
	ds_store_b128 v92, v[101:104] offset:192
	ds_store_b128 v92, v[105:108] offset:384
	v_fma_f64 v[0:1], v[10:11], s[4:5], v[8:9]
	v_fma_f64 v[2:3], v[14:15], s[10:11], v[12:13]
	s_and_saveexec_b32 s1, s0
	s_cbranch_execz .LBB0_21
; %bb.20:
	v_mul_f64_e32 v[14:15], s[4:5], v[14:15]
	v_add_f64_e32 v[16:17], v[6:7], v[38:39]
	v_add_f64_e32 v[4:5], v[4:5], v[36:37]
	v_mul_f64_e32 v[18:19], s[4:5], v[10:11]
	s_delay_alu instid0(VALU_DEP_4) | instskip(NEXT) | instid1(VALU_DEP_4)
	v_add_f64_e32 v[6:7], v[14:15], v[12:13]
	v_add_f64_e32 v[12:13], v[16:17], v[30:31]
	s_delay_alu instid0(VALU_DEP_4) | instskip(NEXT) | instid1(VALU_DEP_4)
	v_add_f64_e32 v[10:11], v[4:5], v[28:29]
	v_add_f64_e64 v[4:5], v[8:9], -v[18:19]
	v_mul_lo_u16 v8, v89, 36
	v_lshlrev_b32_e32 v9, 4, v91
	s_delay_alu instid0(VALU_DEP_2) | instskip(NEXT) | instid1(VALU_DEP_1)
	v_and_b32_e32 v8, 0xffff, v8
	v_lshlrev_b32_e32 v8, 4, v8
	s_delay_alu instid0(VALU_DEP_1)
	v_add3_u32 v8, 0, v9, v8
	ds_store_b128 v8, v[10:13]
	ds_store_b128 v8, v[4:7] offset:192
	ds_store_b128 v8, v[0:3] offset:384
.LBB0_21:
	s_wait_alu 0xfffe
	s_or_b32 exec_lo, exec_lo, s1
	v_subrev_nc_u32_e32 v4, 36, v126
	v_cmp_gt_u32_e64 s0, 36, v126
	v_mul_lo_u16 v6, v87, 57
	global_wb scope:SCOPE_SE
	s_wait_dscnt 0x0
	s_barrier_signal -1
	s_barrier_wait -1
	s_wait_alu 0xf1ff
	v_cndmask_b32_e64 v196, v4, v126, s0
	v_mov_b32_e32 v141, 0
	global_inv scope:SCOPE_SE
	v_mul_lo_u16 v7, v86, 57
	v_lshrrev_b16 v191, 11, v6
	v_lshlrev_b32_e32 v140, 2, v196
	v_add_nc_u32_e32 v190, v84, v52
	v_lshlrev_b32_e32 v229, 4, v196
	s_mov_b32 s4, 0x134454ff
	v_mul_lo_u16 v6, v191, 36
	v_lshlrev_b64_e32 v[4:5], 4, v[140:141]
	v_lshrrev_b16 v140, 11, v7
	v_mul_lo_u16 v7, v85, 57
	s_mov_b32 s5, 0xbfee6f0e
	v_sub_nc_u16 v6, v128, v6
	s_mov_b32 s13, 0x3fee6f0e
	v_add_co_u32 v4, s0, s8, v4
	s_wait_alu 0xf1ff
	v_add_co_ci_u32_e64 v5, s0, s9, v5, s0
	v_mul_lo_u16 v8, v140, 36
	v_lshrrev_b16 v193, 11, v7
	v_and_b32_e32 v192, 0xff, v6
	s_clause 0x3
	global_load_b128 v[142:145], v[4:5], off offset:544
	global_load_b128 v[197:200], v[4:5], off offset:560
	;; [unrolled: 1-line block ×4, first 2 shown]
	v_sub_nc_u16 v4, v139, v8
	v_mul_lo_u16 v5, v193, 36
	v_lshlrev_b32_e32 v12, 6, v192
	s_clause 0x1
	global_load_b128 v[20:23], v12, s[8:9] offset:544
	global_load_b128 v[8:11], v12, s[8:9] offset:560
	v_and_b32_e32 v194, 0xff, v4
	v_sub_nc_u16 v13, v138, v5
	global_load_b128 v[4:7], v12, s[8:9] offset:576
	s_wait_alu 0xfffe
	s_mov_b32 s12, s4
	v_cmp_lt_u32_e64 s0, 35, v126
	v_lshlrev_b32_e32 v14, 6, v194
	s_clause 0x2
	global_load_b128 v[32:35], v12, s[8:9] offset:592
	global_load_b128 v[28:31], v14, s[8:9] offset:544
	;; [unrolled: 1-line block ×3, first 2 shown]
	v_and_b32_e32 v195, 0xff, v13
	s_mov_b32 s10, 0x4755a5e
	s_mov_b32 s11, 0xbfe2cf23
	s_mov_b32 s1, 0x3fe2cf23
	s_wait_alu 0xf1ff
	v_cndmask_b32_e64 v228, 0, 0xb40, s0
	v_lshlrev_b32_e32 v36, 6, v195
	s_clause 0x5
	global_load_b128 v[16:19], v14, s[8:9] offset:576
	global_load_b128 v[12:15], v14, s[8:9] offset:592
	;; [unrolled: 1-line block ×6, first 2 shown]
	ds_load_b128 v[174:177], v188
	ds_load_b128 v[205:208], v190
	ds_load_b128 v[209:212], v180 offset:16128
	ds_load_b128 v[120:123], v180 offset:12096
	;; [unrolled: 1-line block ×13, first 2 shown]
	ds_load_b128 v[108:111], v180
	ds_load_b128 v[116:119], v180 offset:19152
	ds_load_b128 v[104:107], v183
	ds_load_b128 v[72:75], v184
	;; [unrolled: 1-line block ×3, first 2 shown]
	s_wait_alu 0xfffe
	s_mov_b32 s0, s10
	s_mov_b32 s14, 0x372fe950
	;; [unrolled: 1-line block ×3, first 2 shown]
	global_wb scope:SCOPE_SE
	s_wait_loadcnt_dscnt 0x0
	s_barrier_signal -1
	s_barrier_wait -1
	global_inv scope:SCOPE_SE
	v_mul_f64_e32 v[213:214], v[176:177], v[144:145]
	v_mul_f64_e32 v[144:145], v[174:175], v[144:145]
	;; [unrolled: 1-line block ×26, first 2 shown]
	v_fma_f64 v[26:27], v[174:175], v[142:143], v[213:214]
	v_mul_f64_e32 v[174:175], v[96:97], v[18:19]
	v_fma_f64 v[30:31], v[176:177], v[142:143], -v[144:145]
	v_mul_f64_e32 v[176:177], v[100:101], v[14:15]
	v_mul_f64_e32 v[142:143], v[62:63], v[42:43]
	;; [unrolled: 1-line block ×3, first 2 shown]
	v_fma_f64 v[18:19], v[207:208], v[197:198], -v[199:200]
	v_fma_f64 v[10:11], v[211:212], v[201:202], -v[203:204]
	v_mul_f64_e32 v[144:145], v[118:119], v[38:39]
	v_mul_f64_e32 v[38:39], v[116:117], v[38:39]
	v_fma_f64 v[14:15], v[120:121], v[112:113], v[219:220]
	v_fma_f64 v[112:113], v[122:123], v[112:113], -v[178:179]
	v_fma_f64 v[22:23], v[205:206], v[197:198], v[215:216]
	v_fma_f64 v[68:69], v[68:69], v[20:21], v[146:147]
	v_fma_f64 v[20:21], v[70:71], v[20:21], -v[148:149]
	v_fma_f64 v[64:65], v[64:65], v[8:9], v[150:151]
	v_fma_f64 v[8:9], v[66:67], v[8:9], -v[152:153]
	;; [unrolled: 2-line block ×4, first 2 shown]
	v_fma_f64 v[6:7], v[209:210], v[201:202], v[217:218]
	v_fma_f64 v[82:83], v[92:93], v[24:25], v[166:167]
	v_fma_f64 v[24:25], v[94:95], v[24:25], -v[168:169]
	v_fma_f64 v[32:33], v[88:89], v[28:29], v[162:163]
	v_fma_f64 v[84:85], v[96:97], v[16:17], v[170:171]
	v_fma_f64 v[28:29], v[90:91], v[28:29], -v[164:165]
	;; [unrolled: 3-line block ×3, first 2 shown]
	v_fma_f64 v[50:51], v[56:57], v[44:45], v[114:115]
	v_fma_f64 v[44:45], v[58:59], v[44:45], -v[46:47]
	v_fma_f64 v[16:17], v[98:99], v[16:17], -v[174:175]
	v_add_f64_e32 v[94:95], v[110:111], v[30:31]
	v_fma_f64 v[12:13], v[102:103], v[12:13], -v[176:177]
	v_fma_f64 v[46:47], v[60:61], v[40:41], v[142:143]
	v_fma_f64 v[40:41], v[62:63], v[40:41], -v[42:43]
	v_add_f64_e64 v[96:97], v[30:31], -v[18:19]
	v_add_f64_e32 v[76:77], v[30:31], v[10:11]
	v_fma_f64 v[42:43], v[116:117], v[36:37], v[144:145]
	v_fma_f64 v[56:57], v[118:119], v[36:37], -v[38:39]
	v_add_f64_e32 v[36:37], v[108:109], v[26:27]
	v_add_f64_e32 v[62:63], v[18:19], v[112:113]
	;; [unrolled: 1-line block ×3, first 2 shown]
	v_add_f64_e64 v[78:79], v[26:27], -v[22:23]
	v_add_f64_e32 v[160:161], v[106:107], v[20:21]
	v_add_f64_e64 v[90:91], v[22:23], -v[26:27]
	v_add_f64_e64 v[58:59], v[30:31], -v[10:11]
	v_add_f64_e32 v[116:117], v[64:65], v[66:67]
	v_add_f64_e32 v[120:121], v[8:9], v[4:5]
	;; [unrolled: 1-line block ×5, first 2 shown]
	v_add_f64_e64 v[88:89], v[6:7], -v[14:15]
	v_add_f64_e64 v[92:93], v[14:15], -v[6:7]
	;; [unrolled: 1-line block ×4, first 2 shown]
	v_add_f64_e32 v[142:143], v[82:83], v[84:85]
	v_add_f64_e32 v[144:145], v[32:33], v[86:87]
	v_add_f64_e64 v[162:163], v[20:21], -v[8:9]
	v_add_f64_e64 v[164:165], v[80:81], -v[4:5]
	;; [unrolled: 1-line block ×3, first 2 shown]
	v_add_f64_e32 v[150:151], v[104:105], v[68:69]
	v_add_f64_e64 v[102:103], v[18:19], -v[112:113]
	v_add_f64_e64 v[26:27], v[26:27], -v[6:7]
	;; [unrolled: 1-line block ×3, first 2 shown]
	v_add_f64_e32 v[200:201], v[74:75], v[28:29]
	v_add_f64_e32 v[206:207], v[52:53], v[34:35]
	;; [unrolled: 1-line block ×3, first 2 shown]
	v_add_f64_e64 v[166:167], v[8:9], -v[20:21]
	v_add_f64_e32 v[146:147], v[24:25], v[16:17]
	v_add_f64_e32 v[18:19], v[94:95], v[18:19]
	;; [unrolled: 1-line block ×5, first 2 shown]
	v_add_f64_e64 v[168:169], v[4:5], -v[80:81]
	v_fma_f64 v[76:77], v[76:77], -0.5, v[110:111]
	v_add_f64_e32 v[214:215], v[34:35], v[42:43]
	v_add_f64_e64 v[152:153], v[68:69], -v[64:65]
	v_add_f64_e32 v[22:23], v[36:37], v[22:23]
	v_fma_f64 v[62:63], v[62:63], -0.5, v[110:111]
	v_add_f64_e32 v[110:111], v[48:49], v[56:57]
	v_fma_f64 v[38:39], v[38:39], -0.5, v[108:109]
	v_add_f64_e64 v[156:157], v[64:65], -v[68:69]
	v_add_f64_e64 v[20:21], v[20:21], -v[80:81]
	;; [unrolled: 1-line block ×3, first 2 shown]
	v_fma_f64 v[116:117], v[116:117], -0.5, v[104:105]
	v_add_f64_e64 v[154:155], v[70:71], -v[66:67]
	v_fma_f64 v[104:105], v[118:119], -0.5, v[104:105]
	v_fma_f64 v[118:119], v[120:121], -0.5, v[106:107]
	;; [unrolled: 1-line block ×3, first 2 shown]
	v_add_f64_e64 v[120:121], v[44:45], -v[48:49]
	v_add_f64_e64 v[122:123], v[40:41], -v[56:57]
	v_fma_f64 v[60:61], v[60:61], -0.5, v[108:109]
	v_add_f64_e32 v[78:79], v[78:79], v[88:89]
	v_add_f64_e64 v[88:89], v[8:9], -v[4:5]
	v_add_f64_e32 v[8:9], v[160:161], v[8:9]
	v_add_f64_e64 v[170:171], v[32:33], -v[82:83]
	v_add_f64_e64 v[172:173], v[86:87], -v[84:85]
	v_add_f64_e32 v[90:91], v[90:91], v[92:93]
	v_add_f64_e64 v[92:93], v[64:65], -v[66:67]
	v_add_f64_e32 v[198:199], v[72:73], v[32:33]
	v_add_f64_e64 v[158:159], v[66:67], -v[70:71]
	v_add_f64_e64 v[174:175], v[82:83], -v[32:33]
	;; [unrolled: 1-line block ×7, first 2 shown]
	v_add_f64_e32 v[100:101], v[30:31], v[100:101]
	v_fma_f64 v[30:31], v[142:143], -0.5, v[72:73]
	v_fma_f64 v[142:143], v[146:147], -0.5, v[74:75]
	v_add_f64_e64 v[36:37], v[24:25], -v[16:17]
	v_add_f64_e64 v[94:95], v[82:83], -v[84:85]
	v_fma_f64 v[72:73], v[144:145], -0.5, v[72:73]
	v_fma_f64 v[74:75], v[148:149], -0.5, v[74:75]
	v_add_f64_e64 v[202:203], v[24:25], -v[28:29]
	v_add_f64_e64 v[204:205], v[16:17], -v[12:13]
	;; [unrolled: 1-line block ×7, first 2 shown]
	v_add_f64_e32 v[148:149], v[162:163], v[164:165]
	v_fma_f64 v[160:161], v[208:209], -0.5, v[52:53]
	v_fma_f64 v[164:165], v[222:223], -0.5, v[54:55]
	v_add_f64_e32 v[96:97], v[96:97], v[98:99]
	v_add_f64_e64 v[98:99], v[44:45], -v[40:41]
	v_add_f64_e32 v[28:29], v[150:151], v[64:65]
	v_add_f64_e64 v[64:65], v[50:51], -v[46:47]
	v_fma_f64 v[52:53], v[214:215], -0.5, v[52:53]
	v_fma_f64 v[54:55], v[110:111], -0.5, v[54:55]
	v_add_f64_e32 v[24:25], v[200:201], v[24:25]
	v_add_f64_e32 v[50:51], v[206:207], v[50:51]
	;; [unrolled: 1-line block ×4, first 2 shown]
	v_fma_f64 v[122:123], v[58:59], s[4:5], v[38:39]
	v_add_f64_e32 v[14:15], v[22:23], v[14:15]
	v_add_f64_e32 v[18:19], v[18:19], v[112:113]
	v_fma_f64 v[112:113], v[26:27], s[12:13], v[62:63]
	v_add_f64_e32 v[150:151], v[166:167], v[168:169]
	v_fma_f64 v[22:23], v[102:103], s[12:13], v[60:61]
	v_fma_f64 v[60:61], v[102:103], s[4:5], v[60:61]
	;; [unrolled: 1-line block ×7, first 2 shown]
	v_add_f64_e32 v[4:5], v[8:9], v[4:5]
	v_fma_f64 v[8:9], v[68:69], s[12:13], v[118:119]
	v_add_f64_e32 v[144:145], v[152:153], v[154:155]
	v_add_f64_e32 v[152:153], v[170:171], v[172:173]
	v_fma_f64 v[116:117], v[20:21], s[12:13], v[116:117]
	v_fma_f64 v[170:171], v[88:89], s[12:13], v[104:105]
	;; [unrolled: 1-line block ×3, first 2 shown]
	v_add_f64_e32 v[82:83], v[198:199], v[82:83]
	v_fma_f64 v[104:105], v[88:89], s[4:5], v[104:105]
	v_fma_f64 v[118:119], v[68:69], s[4:5], v[118:119]
	v_fma_f64 v[106:107], v[92:93], s[12:13], v[106:107]
	v_add_f64_e32 v[146:147], v[156:157], v[158:159]
	v_add_f64_e32 v[154:155], v[174:175], v[176:177]
	;; [unrolled: 1-line block ×3, first 2 shown]
	v_fma_f64 v[174:175], v[226:227], s[4:5], v[30:31]
	v_fma_f64 v[196:197], v[32:33], s[12:13], v[142:143]
	;; [unrolled: 1-line block ×8, first 2 shown]
	v_add_f64_e64 v[212:213], v[42:43], -v[46:47]
	v_add_f64_e64 v[108:109], v[56:57], -v[40:41]
	v_add_f64_e32 v[158:159], v[202:203], v[204:205]
	v_fma_f64 v[200:201], v[48:49], s[4:5], v[160:161]
	v_fma_f64 v[204:205], v[34:35], s[12:13], v[164:165]
	v_add_f64_e64 v[218:219], v[46:47], -v[42:43]
	v_fma_f64 v[202:203], v[98:99], s[12:13], v[52:53]
	v_fma_f64 v[206:207], v[64:65], s[4:5], v[54:55]
	;; [unrolled: 1-line block ×6, first 2 shown]
	v_add_f64_e32 v[66:67], v[28:29], v[66:67]
	v_add_f64_e32 v[16:17], v[24:25], v[16:17]
	;; [unrolled: 1-line block ×4, first 2 shown]
	v_fma_f64 v[44:45], v[102:103], s[10:11], v[122:123]
	v_add_f64_e32 v[28:29], v[14:15], v[6:7]
	s_wait_alu 0xfffe
	v_fma_f64 v[6:7], v[114:115], s[0:1], v[112:113]
	v_fma_f64 v[22:23], v[58:59], s[10:11], v[22:23]
	;; [unrolled: 1-line block ×3, first 2 shown]
	v_add_f64_e32 v[30:31], v[18:19], v[10:11]
	v_fma_f64 v[18:19], v[26:27], s[0:1], v[166:167]
	v_fma_f64 v[26:27], v[26:27], s[10:11], v[76:77]
	;; [unrolled: 1-line block ×9, first 2 shown]
	v_add_f64_e32 v[82:83], v[82:83], v[84:85]
	v_fma_f64 v[20:21], v[20:21], s[0:1], v[104:105]
	v_fma_f64 v[84:85], v[92:93], s[10:11], v[118:119]
	;; [unrolled: 1-line block ×11, first 2 shown]
	v_add_f64_e32 v[162:163], v[210:211], v[212:213]
	v_add_f64_e32 v[108:109], v[224:225], v[108:109]
	v_fma_f64 v[122:123], v[98:99], s[10:11], v[200:201]
	v_fma_f64 v[166:167], v[64:65], s[0:1], v[204:205]
	v_add_f64_e32 v[110:111], v[216:217], v[218:219]
	v_fma_f64 v[142:143], v[48:49], s[10:11], v[202:203]
	v_fma_f64 v[168:169], v[34:35], s[0:1], v[206:207]
	v_fma_f64 v[98:99], v[98:99], s[0:1], v[160:161]
	v_fma_f64 v[160:161], v[48:49], s[0:1], v[52:53]
	v_fma_f64 v[170:171], v[34:35], s[10:11], v[54:55]
	v_fma_f64 v[164:165], v[64:65], s[10:11], v[164:165]
	v_add_f64_e32 v[8:9], v[24:25], v[42:43]
	v_add_f64_e32 v[10:11], v[40:41], v[56:57]
	v_fma_f64 v[40:41], v[78:79], s[14:15], v[44:45]
	v_fma_f64 v[42:43], v[96:97], s[14:15], v[6:7]
	v_fma_f64 v[48:49], v[90:91], s[14:15], v[22:23]
	v_fma_f64 v[52:53], v[90:91], s[14:15], v[50:51]
	v_fma_f64 v[50:51], v[100:101], s[14:15], v[18:19]
	v_fma_f64 v[54:55], v[100:101], s[14:15], v[26:27]
	v_fma_f64 v[44:45], v[78:79], s[14:15], v[46:47]
	v_fma_f64 v[46:47], v[96:97], s[14:15], v[14:15]
	v_add_f64_e32 v[32:33], v[66:67], v[70:71]
	v_add_f64_e32 v[34:35], v[4:5], v[80:81]
	v_fma_f64 v[56:57], v[144:145], s[14:15], v[58:59]
	v_fma_f64 v[58:59], v[148:149], s[14:15], v[76:77]
	;; [unrolled: 10-line block ×3, first 2 shown]
	v_fma_f64 v[76:77], v[154:155], s[14:15], v[106:107]
	v_fma_f64 v[78:79], v[158:159], s[14:15], v[116:117]
	;; [unrolled: 1-line block ×14, first 2 shown]
	v_and_b32_e32 v84, 0xffff, v191
	v_and_b32_e32 v85, 0xffff, v140
	;; [unrolled: 1-line block ×3, first 2 shown]
	v_add3_u32 v87, 0, v228, v229
	v_lshlrev_b32_e32 v88, 4, v192
	v_mul_u32_u24_e32 v84, 0xb40, v84
	v_mul_u32_u24_e32 v85, 0xb40, v85
	;; [unrolled: 1-line block ×3, first 2 shown]
	v_lshlrev_b32_e32 v89, 4, v194
	v_lshlrev_b32_e32 v90, 4, v195
	v_add3_u32 v84, 0, v84, v88
	v_cmp_gt_u32_e64 s0, 54, v126
	s_delay_alu instid0(VALU_DEP_4) | instskip(NEXT) | instid1(VALU_DEP_4)
	v_add3_u32 v85, 0, v85, v89
	v_add3_u32 v86, 0, v86, v90
	ds_store_b128 v87, v[28:31]
	ds_store_b128 v87, v[40:43] offset:576
	ds_store_b128 v87, v[48:51] offset:1152
	ds_store_b128 v87, v[52:55] offset:1728
	ds_store_b128 v87, v[44:47] offset:2304
	ds_store_b128 v84, v[32:35]
	ds_store_b128 v84, v[56:59] offset:576
	ds_store_b128 v84, v[64:67] offset:1152
	ds_store_b128 v84, v[68:71] offset:1728
	ds_store_b128 v84, v[60:63] offset:2304
	;; [unrolled: 5-line block ×4, first 2 shown]
	global_wb scope:SCOPE_SE
	s_wait_dscnt 0x0
	s_barrier_signal -1
	s_barrier_wait -1
	global_inv scope:SCOPE_SE
	ds_load_b128 v[32:35], v180
	ds_load_b128 v[68:71], v180 offset:2880
	ds_load_b128 v[64:67], v180 offset:5760
	;; [unrolled: 1-line block ×11, first 2 shown]
	ds_load_b128 v[28:31], v183
	ds_load_b128 v[72:75], v180 offset:18288
	s_and_saveexec_b32 s1, s0
	s_cbranch_execz .LBB0_23
; %bb.22:
	ds_load_b128 v[4:7], v184
	ds_load_b128 v[8:11], v180 offset:4896
	ds_load_b128 v[12:15], v180 offset:7776
	;; [unrolled: 1-line block ×6, first 2 shown]
.LBB0_23:
	s_wait_alu 0xfffe
	s_or_b32 exec_lo, exec_lo, s1
	v_mul_u32_u24_e32 v84, 6, v126
	v_mul_i32_i24_e32 v140, 6, v128
	s_mov_b32 s12, 0x37e14327
	s_mov_b32 s16, 0xe976ee23
	;; [unrolled: 1-line block ×3, first 2 shown]
	v_lshlrev_b32_e32 v120, 4, v84
	v_lshlrev_b64_e32 v[100:101], 4, v[140:141]
	s_mov_b32 s17, 0x3fe11646
	s_mov_b32 s4, 0x429ad128
	;; [unrolled: 1-line block ×3, first 2 shown]
	s_clause 0x3
	global_load_b128 v[84:87], v120, s[8:9] offset:2848
	global_load_b128 v[88:91], v120, s[8:9] offset:2864
	;; [unrolled: 1-line block ×4, first 2 shown]
	s_mov_b32 s5, 0xbfebfeb5
	v_add_co_u32 v144, s1, s8, v100
	s_wait_alu 0xf1ff
	v_add_co_ci_u32_e64 v145, s1, s9, v101, s1
	s_mov_b32 s11, 0x3fac98ee
	s_mov_b32 s14, 0xaaaaaaaa
	s_clause 0x7
	global_load_b128 v[100:103], v[144:145], off offset:2848
	global_load_b128 v[104:107], v[144:145], off offset:2864
	;; [unrolled: 1-line block ×4, first 2 shown]
	global_load_b128 v[116:119], v120, s[8:9] offset:2880
	global_load_b128 v[120:123], v120, s[8:9] offset:2896
	global_load_b128 v[140:143], v[144:145], off offset:2880
	global_load_b128 v[144:147], v[144:145], off offset:2896
	s_mov_b32 s22, 0xb247c609
	s_mov_b32 s15, 0xbff2aaaa
	;; [unrolled: 1-line block ×11, first 2 shown]
	global_wb scope:SCOPE_SE
	s_wait_loadcnt_dscnt 0x0
	s_barrier_signal -1
	s_barrier_wait -1
	global_inv scope:SCOPE_SE
	v_mul_f64_e32 v[148:149], v[70:71], v[86:87]
	v_mul_f64_e32 v[86:87], v[68:69], v[86:87]
	v_mul_f64_e32 v[150:151], v[66:67], v[90:91]
	v_mul_f64_e32 v[90:91], v[64:65], v[90:91]
	v_mul_f64_e32 v[152:153], v[82:83], v[94:95]
	v_mul_f64_e32 v[94:95], v[80:81], v[94:95]
	v_mul_f64_e32 v[154:155], v[78:79], v[98:99]
	v_mul_f64_e32 v[98:99], v[76:77], v[98:99]
	v_mul_f64_e32 v[156:157], v[54:55], v[102:103]
	v_mul_f64_e32 v[102:103], v[52:53], v[102:103]
	v_mul_f64_e32 v[158:159], v[58:59], v[106:107]
	v_mul_f64_e32 v[106:107], v[56:57], v[106:107]
	v_mul_f64_e32 v[160:161], v[74:75], v[110:111]
	v_mul_f64_e32 v[110:111], v[72:73], v[110:111]
	v_mul_f64_e32 v[162:163], v[62:63], v[114:115]
	v_mul_f64_e32 v[114:115], v[60:61], v[114:115]
	v_mul_f64_e32 v[164:165], v[46:47], v[118:119]
	v_mul_f64_e32 v[118:119], v[44:45], v[118:119]
	v_mul_f64_e32 v[166:167], v[50:51], v[122:123]
	v_mul_f64_e32 v[122:123], v[48:49], v[122:123]
	v_fma_f64 v[68:69], v[68:69], v[84:85], v[148:149]
	v_fma_f64 v[70:71], v[70:71], v[84:85], -v[86:87]
	v_fma_f64 v[64:65], v[64:65], v[88:89], v[150:151]
	v_fma_f64 v[66:67], v[66:67], v[88:89], -v[90:91]
	;; [unrolled: 2-line block ×4, first 2 shown]
	v_mul_f64_e32 v[84:85], v[38:39], v[142:143]
	v_mul_f64_e32 v[86:87], v[36:37], v[142:143]
	;; [unrolled: 1-line block ×4, first 2 shown]
	v_fma_f64 v[52:53], v[52:53], v[100:101], v[156:157]
	v_fma_f64 v[54:55], v[54:55], v[100:101], -v[102:103]
	v_fma_f64 v[56:57], v[56:57], v[104:105], v[158:159]
	v_fma_f64 v[58:59], v[58:59], v[104:105], -v[106:107]
	;; [unrolled: 2-line block ×6, first 2 shown]
	v_add_f64_e32 v[92:93], v[68:69], v[80:81]
	v_add_f64_e32 v[94:95], v[70:71], v[82:83]
	;; [unrolled: 1-line block ×4, first 2 shown]
	v_fma_f64 v[36:37], v[36:37], v[140:141], v[84:85]
	v_fma_f64 v[38:39], v[38:39], v[140:141], -v[86:87]
	v_fma_f64 v[40:41], v[40:41], v[144:145], v[88:89]
	v_fma_f64 v[42:43], v[42:43], v[144:145], -v[90:91]
	v_add_f64_e64 v[64:65], v[64:65], -v[76:77]
	v_add_f64_e64 v[66:67], v[66:67], -v[78:79]
	v_add_f64_e32 v[84:85], v[52:53], v[72:73]
	v_add_f64_e32 v[86:87], v[54:55], v[74:75]
	;; [unrolled: 1-line block ×4, first 2 shown]
	v_add_f64_e64 v[56:57], v[56:57], -v[60:61]
	v_add_f64_e64 v[58:59], v[58:59], -v[62:63]
	v_add_f64_e32 v[100:101], v[44:45], v[48:49]
	v_add_f64_e32 v[102:103], v[46:47], v[50:51]
	v_add_f64_e64 v[44:45], v[48:49], -v[44:45]
	v_add_f64_e64 v[46:47], v[50:51], -v[46:47]
	;; [unrolled: 1-line block ×4, first 2 shown]
	v_add_f64_e32 v[68:69], v[96:97], v[92:93]
	v_add_f64_e32 v[70:71], v[98:99], v[94:95]
	;; [unrolled: 1-line block ×4, first 2 shown]
	v_add_f64_e64 v[36:37], v[40:41], -v[36:37]
	v_add_f64_e64 v[38:39], v[42:43], -v[38:39]
	;; [unrolled: 1-line block ×4, first 2 shown]
	v_add_f64_e32 v[52:53], v[88:89], v[84:85]
	v_add_f64_e32 v[54:55], v[90:91], v[86:87]
	v_add_f64_e64 v[72:73], v[92:93], -v[100:101]
	v_add_f64_e64 v[74:75], v[94:95], -v[102:103]
	;; [unrolled: 1-line block ×8, first 2 shown]
	v_add_f64_e32 v[64:65], v[44:45], v[64:65]
	v_add_f64_e32 v[66:67], v[46:47], v[66:67]
	v_add_f64_e64 v[44:45], v[48:49], -v[44:45]
	v_add_f64_e64 v[46:47], v[50:51], -v[46:47]
	;; [unrolled: 1-line block ×4, first 2 shown]
	v_add_f64_e32 v[68:69], v[100:101], v[68:69]
	v_add_f64_e32 v[70:71], v[102:103], v[70:71]
	v_add_f64_e64 v[100:101], v[84:85], -v[60:61]
	v_add_f64_e64 v[102:103], v[86:87], -v[62:63]
	;; [unrolled: 1-line block ×6, first 2 shown]
	v_add_f64_e32 v[56:57], v[36:37], v[56:57]
	v_add_f64_e32 v[58:59], v[38:39], v[58:59]
	;; [unrolled: 1-line block ×4, first 2 shown]
	v_add_f64_e64 v[60:61], v[60:61], -v[88:89]
	v_add_f64_e64 v[62:63], v[62:63], -v[90:91]
	s_wait_alu 0xfffe
	v_mul_f64_e32 v[72:73], s[12:13], v[72:73]
	v_mul_f64_e32 v[74:75], s[12:13], v[74:75]
	;; [unrolled: 1-line block ×8, first 2 shown]
	v_add_f64_e64 v[36:37], v[40:41], -v[36:37]
	v_add_f64_e64 v[38:39], v[42:43], -v[38:39]
	;; [unrolled: 1-line block ×4, first 2 shown]
	v_add_f64_e32 v[48:49], v[64:65], v[48:49]
	v_add_f64_e32 v[50:51], v[66:67], v[50:51]
	;; [unrolled: 1-line block ×4, first 2 shown]
	v_mul_f64_e32 v[100:101], s[12:13], v[100:101]
	v_mul_f64_e32 v[102:103], s[12:13], v[102:103]
	;; [unrolled: 1-line block ×6, first 2 shown]
	v_add_f64_e32 v[40:41], v[56:57], v[40:41]
	v_add_f64_e32 v[42:43], v[58:59], v[42:43]
	;; [unrolled: 1-line block ×4, first 2 shown]
	v_mul_f64_e32 v[88:89], s[10:11], v[60:61]
	v_mul_f64_e32 v[90:91], s[10:11], v[62:63]
	v_fma_f64 v[56:57], v[76:77], s[10:11], v[72:73]
	v_fma_f64 v[58:59], v[78:79], s[10:11], v[74:75]
	;; [unrolled: 1-line block ×4, first 2 shown]
	v_fma_f64 v[44:45], v[44:45], s[24:25], -v[116:117]
	v_fma_f64 v[46:47], v[46:47], s[24:25], -v[118:119]
	;; [unrolled: 1-line block ×8, first 2 shown]
	v_fma_f64 v[68:69], v[68:69], s[14:15], v[32:33]
	v_fma_f64 v[70:71], v[70:71], s[14:15], v[34:35]
	;; [unrolled: 1-line block ×6, first 2 shown]
	v_fma_f64 v[36:37], v[36:37], s[24:25], -v[120:121]
	v_fma_f64 v[38:39], v[38:39], s[24:25], -v[122:123]
	;; [unrolled: 1-line block ×4, first 2 shown]
	v_fma_f64 v[52:53], v[52:53], s[14:15], v[28:29]
	v_fma_f64 v[54:55], v[54:55], s[14:15], v[30:31]
	v_fma_f64 v[96:97], v[112:113], s[4:5], -v[108:109]
	v_fma_f64 v[98:99], v[114:115], s[4:5], -v[110:111]
	;; [unrolled: 1-line block ×4, first 2 shown]
	v_fma_f64 v[76:77], v[48:49], s[26:27], v[76:77]
	v_fma_f64 v[78:79], v[50:51], s[26:27], v[78:79]
	;; [unrolled: 1-line block ×6, first 2 shown]
	v_add_f64_e32 v[56:57], v[56:57], v[68:69]
	v_add_f64_e32 v[58:59], v[58:59], v[70:71]
	;; [unrolled: 1-line block ×6, first 2 shown]
	v_fma_f64 v[92:93], v[40:41], s[26:27], v[92:93]
	v_fma_f64 v[94:95], v[42:43], s[26:27], v[94:95]
	v_fma_f64 v[104:105], v[40:41], s[26:27], v[36:37]
	v_fma_f64 v[106:107], v[42:43], s[26:27], v[38:39]
	v_add_f64_e32 v[108:109], v[60:61], v[52:53]
	v_add_f64_e32 v[110:111], v[62:63], v[54:55]
	;; [unrolled: 1-line block ×4, first 2 shown]
	v_fma_f64 v[96:97], v[40:41], s[26:27], v[96:97]
	v_fma_f64 v[98:99], v[42:43], s[26:27], v[98:99]
	v_add_f64_e32 v[84:85], v[84:85], v[52:53]
	v_add_f64_e32 v[86:87], v[86:87], v[54:55]
	;; [unrolled: 1-line block ×3, first 2 shown]
	v_add_f64_e64 v[38:39], v[58:59], -v[76:77]
	v_add_f64_e32 v[40:41], v[90:91], v[72:73]
	v_add_f64_e64 v[42:43], v[74:75], -v[88:89]
	v_add_f64_e64 v[44:45], v[48:49], -v[82:83]
	v_add_f64_e32 v[46:47], v[80:81], v[50:51]
	v_add_f64_e32 v[48:49], v[82:83], v[48:49]
	v_add_f64_e64 v[50:51], v[50:51], -v[80:81]
	v_add_f64_e64 v[52:53], v[72:73], -v[90:91]
	v_add_f64_e32 v[54:55], v[88:89], v[74:75]
	v_add_f64_e64 v[56:57], v[56:57], -v[78:79]
	v_add_f64_e32 v[58:59], v[76:77], v[58:59]
	v_add_f64_e32 v[60:61], v[94:95], v[108:109]
	v_add_f64_e64 v[62:63], v[110:111], -v[92:93]
	v_add_f64_e32 v[64:65], v[106:107], v[100:101]
	v_add_f64_e64 v[66:67], v[102:103], -v[104:105]
	v_add_f64_e64 v[76:77], v[100:101], -v[106:107]
	v_add_f64_e32 v[78:79], v[104:105], v[102:103]
	v_add_f64_e64 v[68:69], v[84:85], -v[98:99]
	v_add_f64_e32 v[70:71], v[96:97], v[86:87]
	v_add_f64_e32 v[72:73], v[98:99], v[84:85]
	v_add_f64_e64 v[74:75], v[86:87], -v[96:97]
	v_add_f64_e64 v[80:81], v[108:109], -v[94:95]
	v_add_f64_e32 v[82:83], v[92:93], v[110:111]
	ds_store_b128 v180, v[32:35]
	ds_store_b128 v180, v[36:39] offset:2880
	ds_store_b128 v180, v[40:43] offset:5760
	;; [unrolled: 1-line block ×6, first 2 shown]
	ds_store_b128 v183, v[28:31]
	ds_store_b128 v183, v[60:63] offset:2880
	ds_store_b128 v183, v[64:67] offset:5760
	;; [unrolled: 1-line block ×6, first 2 shown]
	s_and_saveexec_b32 s1, s0
	s_cbranch_execz .LBB0_25
; %bb.24:
	v_subrev_nc_u32_e32 v28, 54, v126
	v_mov_b32_e32 v29, 0
	s_delay_alu instid0(VALU_DEP_2) | instskip(NEXT) | instid1(VALU_DEP_1)
	v_cndmask_b32_e64 v28, v28, v139, s0
	v_mul_i32_i24_e32 v28, 6, v28
	s_delay_alu instid0(VALU_DEP_1) | instskip(NEXT) | instid1(VALU_DEP_1)
	v_lshlrev_b64_e32 v[28:29], 4, v[28:29]
	v_add_co_u32 v48, s0, s8, v28
	s_wait_alu 0xf1ff
	s_delay_alu instid0(VALU_DEP_2)
	v_add_co_ci_u32_e64 v49, s0, s9, v29, s0
	s_clause 0x5
	global_load_b128 v[28:31], v[48:49], off offset:2864
	global_load_b128 v[32:35], v[48:49], off offset:2912
	;; [unrolled: 1-line block ×6, first 2 shown]
	s_wait_loadcnt 0x5
	v_mul_f64_e32 v[52:53], v[12:13], v[30:31]
	s_wait_loadcnt 0x4
	v_mul_f64_e32 v[54:55], v[24:25], v[34:35]
	;; [unrolled: 2-line block ×4, first 2 shown]
	v_mul_f64_e32 v[30:31], v[14:15], v[30:31]
	v_mul_f64_e32 v[34:35], v[26:27], v[34:35]
	;; [unrolled: 1-line block ×4, first 2 shown]
	s_wait_loadcnt 0x1
	v_mul_f64_e32 v[60:61], v[22:23], v[46:47]
	s_wait_loadcnt 0x0
	v_mul_f64_e32 v[62:63], v[18:19], v[50:51]
	v_mul_f64_e32 v[50:51], v[16:17], v[50:51]
	;; [unrolled: 1-line block ×3, first 2 shown]
	v_fma_f64 v[14:15], v[14:15], v[28:29], -v[52:53]
	v_fma_f64 v[26:27], v[26:27], v[32:33], -v[54:55]
	;; [unrolled: 1-line block ×4, first 2 shown]
	v_fma_f64 v[12:13], v[12:13], v[28:29], v[30:31]
	v_fma_f64 v[24:25], v[24:25], v[32:33], v[34:35]
	;; [unrolled: 1-line block ×6, first 2 shown]
	v_fma_f64 v[18:19], v[18:19], v[48:49], -v[50:51]
	v_fma_f64 v[22:23], v[22:23], v[44:45], -v[46:47]
	v_add_f64_e32 v[28:29], v[14:15], v[26:27]
	v_add_f64_e64 v[14:15], v[14:15], -v[26:27]
	v_add_f64_e32 v[30:31], v[10:11], v[2:3]
	v_add_f64_e64 v[10:11], v[10:11], -v[2:3]
	;; [unrolled: 2-line block ×4, first 2 shown]
	v_add_f64_e64 v[36:37], v[20:21], -v[16:17]
	v_add_f64_e32 v[16:17], v[16:17], v[20:21]
	v_add_f64_e32 v[24:25], v[18:19], v[22:23]
	v_add_f64_e64 v[18:19], v[22:23], -v[18:19]
	v_add_f64_e32 v[0:1], v[28:29], v[30:31]
	v_add_f64_e64 v[42:43], v[14:15], -v[10:11]
	;; [unrolled: 2-line block ×3, first 2 shown]
	v_add_f64_e64 v[20:21], v[36:37], -v[12:13]
	v_add_f64_e64 v[26:27], v[34:35], -v[16:17]
	;; [unrolled: 1-line block ×3, first 2 shown]
	v_add_f64_e32 v[12:13], v[36:37], v[12:13]
	v_add_f64_e64 v[36:37], v[8:9], -v[36:37]
	v_add_f64_e32 v[40:41], v[24:25], v[0:1]
	v_add_f64_e64 v[24:25], v[24:25], -v[28:29]
	v_add_f64_e64 v[0:1], v[18:19], -v[14:15]
	v_add_f64_e32 v[14:15], v[18:19], v[14:15]
	v_add_f64_e32 v[44:45], v[16:17], v[2:3]
	v_add_f64_e64 v[16:17], v[16:17], -v[32:33]
	v_mul_f64_e32 v[20:21], s[16:17], v[20:21]
	v_mul_f64_e32 v[26:27], s[12:13], v[26:27]
	;; [unrolled: 1-line block ×4, first 2 shown]
	v_add_f64_e64 v[18:19], v[10:11], -v[18:19]
	v_mul_f64_e32 v[48:49], s[4:5], v[42:43]
	v_add_f64_e32 v[8:9], v[12:13], v[8:9]
	v_add_f64_e32 v[2:3], v[6:7], v[40:41]
	v_add_f64_e64 v[6:7], v[28:29], -v[30:31]
	v_mul_f64_e32 v[28:29], s[10:11], v[24:25]
	v_mul_f64_e32 v[30:31], s[16:17], v[0:1]
	v_add_f64_e32 v[0:1], v[4:5], v[44:45]
	v_add_f64_e64 v[4:5], v[32:33], -v[34:35]
	v_mul_f64_e32 v[32:33], s[10:11], v[16:17]
	v_add_f64_e32 v[10:11], v[14:15], v[10:11]
	v_fma_f64 v[12:13], v[36:37], s[22:23], v[20:21]
	v_fma_f64 v[14:15], v[24:25], s[10:11], v[22:23]
	;; [unrolled: 1-line block ×3, first 2 shown]
	v_fma_f64 v[24:25], v[36:37], s[24:25], -v[46:47]
	v_fma_f64 v[20:21], v[38:39], s[4:5], -v[20:21]
	v_fma_f64 v[34:35], v[40:41], s[14:15], v[2:3]
	v_fma_f64 v[22:23], v[6:7], s[20:21], -v[22:23]
	v_fma_f64 v[6:7], v[6:7], s[18:19], -v[28:29]
	v_fma_f64 v[28:29], v[18:19], s[22:23], v[30:31]
	v_fma_f64 v[36:37], v[44:45], s[14:15], v[0:1]
	v_fma_f64 v[18:19], v[18:19], s[24:25], -v[48:49]
	v_fma_f64 v[26:27], v[4:5], s[20:21], -v[26:27]
	;; [unrolled: 1-line block ×4, first 2 shown]
	v_fma_f64 v[12:13], v[8:9], s[26:27], v[12:13]
	v_fma_f64 v[24:25], v[8:9], s[26:27], v[24:25]
	;; [unrolled: 1-line block ×3, first 2 shown]
	v_add_f64_e32 v[20:21], v[14:15], v[34:35]
	v_add_f64_e32 v[22:23], v[22:23], v[34:35]
	;; [unrolled: 1-line block ×3, first 2 shown]
	v_fma_f64 v[28:29], v[10:11], s[26:27], v[28:29]
	v_add_f64_e32 v[38:39], v[16:17], v[36:37]
	v_fma_f64 v[34:35], v[10:11], s[26:27], v[18:19]
	v_add_f64_e32 v[40:41], v[26:27], v[36:37]
	;; [unrolled: 2-line block ×3, first 2 shown]
	v_add_f64_e64 v[26:27], v[20:21], -v[12:13]
	v_add_f64_e32 v[10:11], v[24:25], v[22:23]
	v_add_f64_e64 v[22:23], v[22:23], -v[24:25]
	v_add_f64_e32 v[6:7], v[12:13], v[20:21]
	v_add_f64_e32 v[24:25], v[28:29], v[38:39]
	;; [unrolled: 1-line block ×4, first 2 shown]
	v_add_f64_e64 v[14:15], v[32:33], -v[8:9]
	v_add_f64_e64 v[16:17], v[4:5], -v[30:31]
	v_add_f64_e32 v[12:13], v[30:31], v[4:5]
	v_add_f64_e64 v[8:9], v[40:41], -v[34:35]
	v_add_f64_e64 v[4:5], v[38:39], -v[28:29]
	ds_store_b128 v180, v[0:3] offset:2016
	ds_store_b128 v180, v[24:27] offset:4896
	;; [unrolled: 1-line block ×7, first 2 shown]
.LBB0_25:
	s_wait_alu 0xfffe
	s_or_b32 exec_lo, exec_lo, s1
	global_wb scope:SCOPE_SE
	s_wait_dscnt 0x0
	s_barrier_signal -1
	s_barrier_wait -1
	global_inv scope:SCOPE_SE
	ds_load_b128 v[4:7], v180
	v_sub_nc_u32_e32 v12, 0, v127
	s_mov_b32 s1, exec_lo
                                        ; implicit-def: $vgpr0_vgpr1
                                        ; implicit-def: $vgpr8_vgpr9
                                        ; implicit-def: $vgpr10_vgpr11
	v_cmpx_ne_u32_e32 0, v126
	s_wait_alu 0xfffe
	s_xor_b32 s1, exec_lo, s1
	s_cbranch_execz .LBB0_27
; %bb.26:
	v_mov_b32_e32 v127, 0
	s_delay_alu instid0(VALU_DEP_1) | instskip(NEXT) | instid1(VALU_DEP_1)
	v_lshlrev_b64_e32 v[0:1], 4, v[126:127]
	v_add_co_u32 v0, s0, s8, v0
	s_wait_alu 0xf1ff
	s_delay_alu instid0(VALU_DEP_2)
	v_add_co_ci_u32_e64 v1, s0, s9, v1, s0
	global_load_b128 v[13:16], v[0:1], off offset:20128
	ds_load_b128 v[0:3], v12 offset:20160
	s_wait_dscnt 0x0
	v_add_f64_e64 v[8:9], v[4:5], -v[0:1]
	v_add_f64_e32 v[10:11], v[6:7], v[2:3]
	v_add_f64_e64 v[2:3], v[6:7], -v[2:3]
	v_add_f64_e32 v[0:1], v[4:5], v[0:1]
	s_delay_alu instid0(VALU_DEP_4) | instskip(NEXT) | instid1(VALU_DEP_4)
	v_mul_f64_e32 v[6:7], 0.5, v[8:9]
	v_mul_f64_e32 v[4:5], 0.5, v[10:11]
	s_delay_alu instid0(VALU_DEP_4) | instskip(SKIP_1) | instid1(VALU_DEP_3)
	v_mul_f64_e32 v[2:3], 0.5, v[2:3]
	s_wait_loadcnt 0x0
	v_mul_f64_e32 v[8:9], v[6:7], v[15:16]
	s_delay_alu instid0(VALU_DEP_2) | instskip(SKIP_1) | instid1(VALU_DEP_3)
	v_fma_f64 v[10:11], v[4:5], v[15:16], v[2:3]
	v_fma_f64 v[2:3], v[4:5], v[15:16], -v[2:3]
	v_fma_f64 v[17:18], v[0:1], 0.5, v[8:9]
	v_fma_f64 v[0:1], v[0:1], 0.5, -v[8:9]
	s_delay_alu instid0(VALU_DEP_4) | instskip(NEXT) | instid1(VALU_DEP_4)
	v_fma_f64 v[10:11], -v[13:14], v[6:7], v[10:11]
	v_fma_f64 v[2:3], -v[13:14], v[6:7], v[2:3]
	s_delay_alu instid0(VALU_DEP_4) | instskip(NEXT) | instid1(VALU_DEP_4)
	v_fma_f64 v[8:9], v[4:5], v[13:14], v[17:18]
	v_fma_f64 v[0:1], -v[4:5], v[13:14], v[0:1]
                                        ; implicit-def: $vgpr4_vgpr5
.LBB0_27:
	s_wait_alu 0xfffe
	s_or_saveexec_b32 s0, s1
	v_sub_nc_u32_e32 v14, 0, v129
	v_sub_nc_u32_e32 v13, 0, v186
	s_wait_alu 0xfffe
	s_xor_b32 exec_lo, exec_lo, s0
	s_cbranch_execz .LBB0_29
; %bb.28:
	s_wait_dscnt 0x0
	v_add_f64_e32 v[8:9], v[4:5], v[6:7]
	v_add_f64_e64 v[0:1], v[4:5], -v[6:7]
	v_mov_b32_e32 v6, 0
	v_mov_b32_e32 v10, 0
	;; [unrolled: 1-line block ×3, first 2 shown]
	s_delay_alu instid0(VALU_DEP_2)
	v_mov_b32_e32 v2, v10
	ds_load_b64 v[4:5], v6 offset:10088
	v_mov_b32_e32 v3, v11
	s_wait_dscnt 0x0
	v_xor_b32_e32 v5, 0x80000000, v5
	ds_store_b64 v6, v[4:5] offset:10088
.LBB0_29:
	s_or_b32 exec_lo, exec_lo, s0
	v_mov_b32_e32 v129, 0
	s_wait_dscnt 0x0
	s_delay_alu instid0(VALU_DEP_1) | instskip(SKIP_1) | instid1(VALU_DEP_1)
	v_lshlrev_b64_e32 v[4:5], 4, v[128:129]
	v_mov_b32_e32 v140, v129
	v_lshlrev_b64_e32 v[15:16], 4, v[139:140]
	v_mov_b32_e32 v139, v129
	s_delay_alu instid0(VALU_DEP_4) | instskip(SKIP_2) | instid1(VALU_DEP_4)
	v_add_co_u32 v4, s0, s8, v4
	s_wait_alu 0xf1ff
	v_add_co_ci_u32_e64 v5, s0, s9, v5, s0
	v_add_co_u32 v15, s0, s8, v15
	s_wait_alu 0xf1ff
	v_add_co_ci_u32_e64 v16, s0, s9, v16, s0
	s_clause 0x1
	global_load_b128 v[4:7], v[4:5], off offset:20128
	global_load_b128 v[15:18], v[15:16], off offset:20128
	ds_store_2addr_b64 v180, v[8:9], v[10:11] offset1:1
	ds_store_b128 v12, v[0:3] offset:20160
	ds_load_b128 v[0:3], v183
	ds_load_b128 v[8:11], v12 offset:19152
	s_wait_dscnt 0x0
	v_add_f64_e64 v[19:20], v[0:1], -v[8:9]
	v_add_f64_e32 v[21:22], v[2:3], v[10:11]
	v_add_f64_e64 v[2:3], v[2:3], -v[10:11]
	v_add_f64_e32 v[0:1], v[0:1], v[8:9]
	s_delay_alu instid0(VALU_DEP_4) | instskip(NEXT) | instid1(VALU_DEP_4)
	v_mul_f64_e32 v[10:11], 0.5, v[19:20]
	v_mul_f64_e32 v[19:20], 0.5, v[21:22]
	s_delay_alu instid0(VALU_DEP_4) | instskip(SKIP_1) | instid1(VALU_DEP_3)
	v_mul_f64_e32 v[2:3], 0.5, v[2:3]
	s_wait_loadcnt 0x1
	v_mul_f64_e32 v[8:9], v[10:11], v[6:7]
	s_delay_alu instid0(VALU_DEP_2) | instskip(SKIP_1) | instid1(VALU_DEP_3)
	v_fma_f64 v[21:22], v[19:20], v[6:7], v[2:3]
	v_fma_f64 v[2:3], v[19:20], v[6:7], -v[2:3]
	v_fma_f64 v[6:7], v[0:1], 0.5, v[8:9]
	v_fma_f64 v[0:1], v[0:1], 0.5, -v[8:9]
	s_delay_alu instid0(VALU_DEP_4) | instskip(NEXT) | instid1(VALU_DEP_4)
	v_fma_f64 v[8:9], -v[4:5], v[10:11], v[21:22]
	v_fma_f64 v[2:3], -v[4:5], v[10:11], v[2:3]
	s_delay_alu instid0(VALU_DEP_4) | instskip(NEXT) | instid1(VALU_DEP_4)
	v_fma_f64 v[10:11], v[19:20], v[4:5], v[6:7]
	v_fma_f64 v[0:1], -v[19:20], v[4:5], v[0:1]
	v_lshlrev_b64_e32 v[4:5], 4, v[138:139]
	v_mov_b32_e32 v138, v129
	s_delay_alu instid0(VALU_DEP_2) | instskip(SKIP_1) | instid1(VALU_DEP_3)
	v_add_co_u32 v4, s0, s8, v4
	s_wait_alu 0xf1ff
	v_add_co_ci_u32_e64 v5, s0, s9, v5, s0
	global_load_b128 v[4:7], v[4:5], off offset:20128
	ds_store_2addr_b64 v183, v[10:11], v[8:9] offset1:1
	ds_store_b128 v12, v[0:3] offset:19152
	ds_load_b128 v[0:3], v184
	ds_load_b128 v[8:11], v12 offset:18144
	s_wait_dscnt 0x0
	v_add_f64_e64 v[19:20], v[0:1], -v[8:9]
	v_add_f64_e32 v[21:22], v[2:3], v[10:11]
	v_add_f64_e64 v[2:3], v[2:3], -v[10:11]
	v_add_f64_e32 v[0:1], v[0:1], v[8:9]
	s_delay_alu instid0(VALU_DEP_4) | instskip(NEXT) | instid1(VALU_DEP_4)
	v_mul_f64_e32 v[10:11], 0.5, v[19:20]
	v_mul_f64_e32 v[19:20], 0.5, v[21:22]
	s_delay_alu instid0(VALU_DEP_4) | instskip(SKIP_1) | instid1(VALU_DEP_3)
	v_mul_f64_e32 v[2:3], 0.5, v[2:3]
	s_wait_loadcnt 0x1
	v_mul_f64_e32 v[8:9], v[10:11], v[17:18]
	s_delay_alu instid0(VALU_DEP_2) | instskip(SKIP_1) | instid1(VALU_DEP_3)
	v_fma_f64 v[21:22], v[19:20], v[17:18], v[2:3]
	v_fma_f64 v[2:3], v[19:20], v[17:18], -v[2:3]
	v_fma_f64 v[17:18], v[0:1], 0.5, v[8:9]
	v_fma_f64 v[0:1], v[0:1], 0.5, -v[8:9]
	s_delay_alu instid0(VALU_DEP_4) | instskip(NEXT) | instid1(VALU_DEP_4)
	v_fma_f64 v[21:22], -v[15:16], v[10:11], v[21:22]
	v_fma_f64 v[2:3], -v[15:16], v[10:11], v[2:3]
	v_lshlrev_b64_e32 v[8:9], 4, v[137:138]
	v_mov_b32_e32 v137, v129
	s_delay_alu instid0(VALU_DEP_2) | instskip(SKIP_1) | instid1(VALU_DEP_3)
	v_add_co_u32 v8, s0, s8, v8
	s_wait_alu 0xf1ff
	v_add_co_ci_u32_e64 v9, s0, s9, v9, s0
	global_load_b128 v[8:11], v[8:9], off offset:20128
	v_fma_f64 v[17:18], v[19:20], v[15:16], v[17:18]
	v_fma_f64 v[0:1], -v[19:20], v[15:16], v[0:1]
	ds_store_2addr_b64 v184, v[17:18], v[21:22] offset1:1
	ds_store_b128 v12, v[0:3] offset:18144
	ds_load_b128 v[0:3], v189
	ds_load_b128 v[15:18], v12 offset:17136
	s_wait_dscnt 0x0
	v_add_f64_e64 v[19:20], v[0:1], -v[15:16]
	v_add_f64_e32 v[21:22], v[2:3], v[17:18]
	v_add_f64_e64 v[2:3], v[2:3], -v[17:18]
	v_add_f64_e32 v[0:1], v[0:1], v[15:16]
	s_delay_alu instid0(VALU_DEP_4) | instskip(NEXT) | instid1(VALU_DEP_4)
	v_mul_f64_e32 v[17:18], 0.5, v[19:20]
	v_mul_f64_e32 v[19:20], 0.5, v[21:22]
	s_delay_alu instid0(VALU_DEP_4) | instskip(SKIP_1) | instid1(VALU_DEP_3)
	v_mul_f64_e32 v[2:3], 0.5, v[2:3]
	s_wait_loadcnt 0x1
	v_mul_f64_e32 v[15:16], v[17:18], v[6:7]
	s_delay_alu instid0(VALU_DEP_2) | instskip(SKIP_1) | instid1(VALU_DEP_3)
	v_fma_f64 v[21:22], v[19:20], v[6:7], v[2:3]
	v_fma_f64 v[2:3], v[19:20], v[6:7], -v[2:3]
	v_fma_f64 v[6:7], v[0:1], 0.5, v[15:16]
	v_fma_f64 v[0:1], v[0:1], 0.5, -v[15:16]
	s_delay_alu instid0(VALU_DEP_4) | instskip(NEXT) | instid1(VALU_DEP_4)
	v_fma_f64 v[15:16], -v[4:5], v[17:18], v[21:22]
	v_fma_f64 v[17:18], -v[4:5], v[17:18], v[2:3]
	s_delay_alu instid0(VALU_DEP_4) | instskip(NEXT) | instid1(VALU_DEP_4)
	v_fma_f64 v[6:7], v[19:20], v[4:5], v[6:7]
	v_fma_f64 v[4:5], -v[19:20], v[4:5], v[0:1]
	v_lshlrev_b64_e32 v[0:1], 4, v[136:137]
	v_mov_b32_e32 v136, v129
	s_delay_alu instid0(VALU_DEP_2) | instskip(SKIP_1) | instid1(VALU_DEP_3)
	v_add_co_u32 v0, s0, s8, v0
	s_wait_alu 0xf1ff
	v_add_co_ci_u32_e64 v1, s0, s9, v1, s0
	global_load_b128 v[0:3], v[0:1], off offset:20128
	ds_store_b64 v189, v[15:16] offset:8
	ds_store_b64 v12, v[17:18] offset:17144
	ds_store_b64 v189, v[6:7]
	ds_store_b64 v12, v[4:5] offset:17136
	ds_load_b128 v[4:7], v188
	ds_load_b128 v[15:18], v12 offset:16128
	s_wait_dscnt 0x0
	v_add_f64_e64 v[19:20], v[4:5], -v[15:16]
	v_add_f64_e32 v[21:22], v[6:7], v[17:18]
	v_add_f64_e64 v[6:7], v[6:7], -v[17:18]
	v_add_f64_e32 v[4:5], v[4:5], v[15:16]
	s_delay_alu instid0(VALU_DEP_4) | instskip(NEXT) | instid1(VALU_DEP_4)
	v_mul_f64_e32 v[17:18], 0.5, v[19:20]
	v_mul_f64_e32 v[19:20], 0.5, v[21:22]
	s_delay_alu instid0(VALU_DEP_4) | instskip(SKIP_1) | instid1(VALU_DEP_3)
	v_mul_f64_e32 v[6:7], 0.5, v[6:7]
	s_wait_loadcnt 0x1
	v_mul_f64_e32 v[15:16], v[17:18], v[10:11]
	s_delay_alu instid0(VALU_DEP_2) | instskip(SKIP_1) | instid1(VALU_DEP_3)
	v_fma_f64 v[21:22], v[19:20], v[10:11], v[6:7]
	v_fma_f64 v[6:7], v[19:20], v[10:11], -v[6:7]
	v_fma_f64 v[10:11], v[4:5], 0.5, v[15:16]
	v_fma_f64 v[4:5], v[4:5], 0.5, -v[15:16]
	s_delay_alu instid0(VALU_DEP_4) | instskip(NEXT) | instid1(VALU_DEP_4)
	v_fma_f64 v[15:16], -v[8:9], v[17:18], v[21:22]
	v_fma_f64 v[17:18], -v[8:9], v[17:18], v[6:7]
	s_delay_alu instid0(VALU_DEP_4) | instskip(NEXT) | instid1(VALU_DEP_4)
	v_fma_f64 v[10:11], v[19:20], v[8:9], v[10:11]
	v_fma_f64 v[8:9], -v[19:20], v[8:9], v[4:5]
	v_lshlrev_b64_e32 v[4:5], 4, v[135:136]
	v_mov_b32_e32 v135, v129
	s_delay_alu instid0(VALU_DEP_2) | instskip(SKIP_1) | instid1(VALU_DEP_3)
	v_add_co_u32 v4, s0, s8, v4
	s_wait_alu 0xf1ff
	v_add_co_ci_u32_e64 v5, s0, s9, v5, s0
	global_load_b128 v[4:7], v[4:5], off offset:20128
	ds_store_b64 v188, v[15:16] offset:8
	ds_store_b64 v12, v[17:18] offset:16136
	ds_store_b64 v188, v[10:11]
	ds_store_b64 v12, v[8:9] offset:16128
	ds_load_b128 v[8:11], v187
	ds_load_b128 v[15:18], v12 offset:15120
	s_wait_dscnt 0x0
	v_add_f64_e64 v[19:20], v[8:9], -v[15:16]
	v_add_f64_e32 v[21:22], v[10:11], v[17:18]
	v_add_f64_e64 v[10:11], v[10:11], -v[17:18]
	v_add_f64_e32 v[8:9], v[8:9], v[15:16]
	s_delay_alu instid0(VALU_DEP_4) | instskip(NEXT) | instid1(VALU_DEP_4)
	v_mul_f64_e32 v[17:18], 0.5, v[19:20]
	v_mul_f64_e32 v[19:20], 0.5, v[21:22]
	s_delay_alu instid0(VALU_DEP_4) | instskip(SKIP_1) | instid1(VALU_DEP_3)
	v_mul_f64_e32 v[10:11], 0.5, v[10:11]
	s_wait_loadcnt 0x1
	v_mul_f64_e32 v[15:16], v[17:18], v[2:3]
	s_delay_alu instid0(VALU_DEP_2) | instskip(SKIP_1) | instid1(VALU_DEP_3)
	v_fma_f64 v[21:22], v[19:20], v[2:3], v[10:11]
	v_fma_f64 v[2:3], v[19:20], v[2:3], -v[10:11]
	v_fma_f64 v[10:11], v[8:9], 0.5, v[15:16]
	v_fma_f64 v[8:9], v[8:9], 0.5, -v[15:16]
	s_delay_alu instid0(VALU_DEP_4) | instskip(NEXT) | instid1(VALU_DEP_4)
	v_fma_f64 v[15:16], -v[0:1], v[17:18], v[21:22]
	v_fma_f64 v[17:18], -v[0:1], v[17:18], v[2:3]
	s_delay_alu instid0(VALU_DEP_4) | instskip(NEXT) | instid1(VALU_DEP_4)
	v_fma_f64 v[10:11], v[19:20], v[0:1], v[10:11]
	v_fma_f64 v[8:9], -v[19:20], v[0:1], v[8:9]
	v_lshlrev_b64_e32 v[0:1], 4, v[134:135]
	s_delay_alu instid0(VALU_DEP_1) | instskip(SKIP_1) | instid1(VALU_DEP_2)
	v_add_co_u32 v0, s0, s8, v0
	s_wait_alu 0xf1ff
	v_add_co_ci_u32_e64 v1, s0, s9, v1, s0
	global_load_b128 v[0:3], v[0:1], off offset:20128
	ds_store_b64 v187, v[15:16] offset:8
	ds_store_b64 v12, v[17:18] offset:15128
	ds_store_b64 v187, v[10:11]
	ds_store_b64 v12, v[8:9] offset:15120
	ds_load_b128 v[8:11], v185
	ds_load_b128 v[15:18], v12 offset:14112
	s_wait_dscnt 0x0
	v_add_f64_e64 v[19:20], v[8:9], -v[15:16]
	v_add_f64_e32 v[21:22], v[10:11], v[17:18]
	v_add_f64_e64 v[10:11], v[10:11], -v[17:18]
	v_add_f64_e32 v[8:9], v[8:9], v[15:16]
	s_delay_alu instid0(VALU_DEP_4) | instskip(NEXT) | instid1(VALU_DEP_4)
	v_mul_f64_e32 v[17:18], 0.5, v[19:20]
	v_mul_f64_e32 v[19:20], 0.5, v[21:22]
	s_delay_alu instid0(VALU_DEP_4) | instskip(SKIP_1) | instid1(VALU_DEP_3)
	v_mul_f64_e32 v[10:11], 0.5, v[10:11]
	s_wait_loadcnt 0x1
	v_mul_f64_e32 v[15:16], v[17:18], v[6:7]
	s_delay_alu instid0(VALU_DEP_2) | instskip(SKIP_1) | instid1(VALU_DEP_3)
	v_fma_f64 v[21:22], v[19:20], v[6:7], v[10:11]
	v_fma_f64 v[6:7], v[19:20], v[6:7], -v[10:11]
	v_fma_f64 v[10:11], v[8:9], 0.5, v[15:16]
	v_fma_f64 v[8:9], v[8:9], 0.5, -v[15:16]
	s_delay_alu instid0(VALU_DEP_4) | instskip(NEXT) | instid1(VALU_DEP_4)
	v_fma_f64 v[15:16], -v[4:5], v[17:18], v[21:22]
	v_fma_f64 v[17:18], -v[4:5], v[17:18], v[6:7]
	v_add_nc_u32_e32 v22, v182, v14
	v_mov_b32_e32 v134, v129
	v_fma_f64 v[10:11], v[19:20], v[4:5], v[10:11]
	v_fma_f64 v[8:9], -v[19:20], v[4:5], v[8:9]
	s_delay_alu instid0(VALU_DEP_3) | instskip(SKIP_1) | instid1(VALU_DEP_2)
	v_lshlrev_b64_e32 v[4:5], 4, v[133:134]
	v_mov_b32_e32 v133, v129
	v_add_co_u32 v4, s0, s8, v4
	s_wait_alu 0xf1ff
	s_delay_alu instid0(VALU_DEP_3)
	v_add_co_ci_u32_e64 v5, s0, s9, v5, s0
	global_load_b128 v[4:7], v[4:5], off offset:20128
	ds_store_b64 v185, v[15:16] offset:8
	ds_store_b64 v12, v[17:18] offset:14120
	ds_store_b64 v185, v[10:11]
	ds_store_b64 v12, v[8:9] offset:14112
	ds_load_b128 v[8:11], v22
	ds_load_b128 v[14:17], v12 offset:13104
	s_wait_dscnt 0x0
	v_add_f64_e64 v[18:19], v[8:9], -v[14:15]
	v_add_f64_e32 v[20:21], v[10:11], v[16:17]
	v_add_f64_e64 v[10:11], v[10:11], -v[16:17]
	v_add_f64_e32 v[8:9], v[8:9], v[14:15]
	s_delay_alu instid0(VALU_DEP_4) | instskip(NEXT) | instid1(VALU_DEP_4)
	v_mul_f64_e32 v[16:17], 0.5, v[18:19]
	v_mul_f64_e32 v[18:19], 0.5, v[20:21]
	s_delay_alu instid0(VALU_DEP_4) | instskip(SKIP_1) | instid1(VALU_DEP_3)
	v_mul_f64_e32 v[10:11], 0.5, v[10:11]
	s_wait_loadcnt 0x1
	v_mul_f64_e32 v[14:15], v[16:17], v[2:3]
	s_delay_alu instid0(VALU_DEP_2) | instskip(SKIP_1) | instid1(VALU_DEP_3)
	v_fma_f64 v[20:21], v[18:19], v[2:3], v[10:11]
	v_fma_f64 v[2:3], v[18:19], v[2:3], -v[10:11]
	v_fma_f64 v[10:11], v[8:9], 0.5, v[14:15]
	v_fma_f64 v[8:9], v[8:9], 0.5, -v[14:15]
	s_delay_alu instid0(VALU_DEP_4) | instskip(NEXT) | instid1(VALU_DEP_4)
	v_fma_f64 v[14:15], -v[0:1], v[16:17], v[20:21]
	v_fma_f64 v[16:17], -v[0:1], v[16:17], v[2:3]
	s_delay_alu instid0(VALU_DEP_4) | instskip(NEXT) | instid1(VALU_DEP_4)
	v_fma_f64 v[10:11], v[18:19], v[0:1], v[10:11]
	v_fma_f64 v[8:9], -v[18:19], v[0:1], v[8:9]
	v_lshlrev_b64_e32 v[0:1], 4, v[132:133]
	s_delay_alu instid0(VALU_DEP_1) | instskip(SKIP_1) | instid1(VALU_DEP_2)
	v_add_co_u32 v0, s0, s8, v0
	s_wait_alu 0xf1ff
	v_add_co_ci_u32_e64 v1, s0, s9, v1, s0
	global_load_b128 v[0:3], v[0:1], off offset:20128
	ds_store_b64 v22, v[14:15] offset:8
	ds_store_b64 v12, v[16:17] offset:13112
	ds_store_b64 v22, v[10:11]
	ds_store_b64 v12, v[8:9] offset:13104
	ds_load_b128 v[8:11], v190
	ds_load_b128 v[14:17], v12 offset:12096
	s_wait_dscnt 0x0
	v_add_f64_e64 v[18:19], v[8:9], -v[14:15]
	v_add_f64_e32 v[20:21], v[10:11], v[16:17]
	v_add_f64_e64 v[10:11], v[10:11], -v[16:17]
	v_add_f64_e32 v[8:9], v[8:9], v[14:15]
	s_delay_alu instid0(VALU_DEP_4) | instskip(NEXT) | instid1(VALU_DEP_4)
	v_mul_f64_e32 v[16:17], 0.5, v[18:19]
	v_mul_f64_e32 v[18:19], 0.5, v[20:21]
	s_delay_alu instid0(VALU_DEP_4) | instskip(SKIP_1) | instid1(VALU_DEP_3)
	v_mul_f64_e32 v[10:11], 0.5, v[10:11]
	s_wait_loadcnt 0x1
	v_mul_f64_e32 v[14:15], v[16:17], v[6:7]
	s_delay_alu instid0(VALU_DEP_2) | instskip(SKIP_1) | instid1(VALU_DEP_3)
	v_fma_f64 v[20:21], v[18:19], v[6:7], v[10:11]
	v_fma_f64 v[6:7], v[18:19], v[6:7], -v[10:11]
	v_fma_f64 v[10:11], v[8:9], 0.5, v[14:15]
	v_fma_f64 v[8:9], v[8:9], 0.5, -v[14:15]
	s_delay_alu instid0(VALU_DEP_4) | instskip(NEXT) | instid1(VALU_DEP_4)
	v_fma_f64 v[14:15], -v[4:5], v[16:17], v[20:21]
	v_fma_f64 v[6:7], -v[4:5], v[16:17], v[6:7]
	v_add_nc_u32_e32 v17, v181, v13
	v_fma_f64 v[10:11], v[18:19], v[4:5], v[10:11]
	v_fma_f64 v[4:5], -v[18:19], v[4:5], v[8:9]
	ds_store_b64 v190, v[14:15] offset:8
	ds_store_b64 v12, v[6:7] offset:12104
	ds_store_b64 v190, v[10:11]
	ds_store_b64 v12, v[4:5] offset:12096
	ds_load_b128 v[4:7], v17
	ds_load_b128 v[8:11], v12 offset:11088
	s_wait_dscnt 0x0
	v_add_f64_e64 v[13:14], v[4:5], -v[8:9]
	v_add_f64_e32 v[15:16], v[6:7], v[10:11]
	v_add_f64_e64 v[6:7], v[6:7], -v[10:11]
	v_add_f64_e32 v[4:5], v[4:5], v[8:9]
	s_delay_alu instid0(VALU_DEP_4) | instskip(NEXT) | instid1(VALU_DEP_4)
	v_mul_f64_e32 v[10:11], 0.5, v[13:14]
	v_mul_f64_e32 v[13:14], 0.5, v[15:16]
	s_delay_alu instid0(VALU_DEP_4) | instskip(SKIP_1) | instid1(VALU_DEP_3)
	v_mul_f64_e32 v[6:7], 0.5, v[6:7]
	s_wait_loadcnt 0x0
	v_mul_f64_e32 v[8:9], v[10:11], v[2:3]
	s_delay_alu instid0(VALU_DEP_2) | instskip(SKIP_1) | instid1(VALU_DEP_3)
	v_fma_f64 v[15:16], v[13:14], v[2:3], v[6:7]
	v_fma_f64 v[2:3], v[13:14], v[2:3], -v[6:7]
	v_fma_f64 v[6:7], v[4:5], 0.5, v[8:9]
	v_fma_f64 v[4:5], v[4:5], 0.5, -v[8:9]
	s_delay_alu instid0(VALU_DEP_4) | instskip(NEXT) | instid1(VALU_DEP_4)
	v_fma_f64 v[8:9], -v[0:1], v[10:11], v[15:16]
	v_fma_f64 v[2:3], -v[0:1], v[10:11], v[2:3]
	s_delay_alu instid0(VALU_DEP_4) | instskip(NEXT) | instid1(VALU_DEP_4)
	v_fma_f64 v[6:7], v[13:14], v[0:1], v[6:7]
	v_fma_f64 v[0:1], -v[13:14], v[0:1], v[4:5]
	ds_store_b64 v17, v[8:9] offset:8
	ds_store_b64 v12, v[2:3] offset:11096
	ds_store_b64 v17, v[6:7]
	ds_store_b64 v12, v[0:1] offset:11088
	global_wb scope:SCOPE_SE
	s_wait_dscnt 0x0
	s_barrier_signal -1
	s_barrier_wait -1
	global_inv scope:SCOPE_SE
	s_and_saveexec_b32 s0, vcc_lo
	s_cbranch_execz .LBB0_32
; %bb.30:
	v_mul_lo_u32 v2, s3, v130
	v_mul_lo_u32 v3, s2, v131
	v_mad_co_u64_u32 v[0:1], null, s2, v130, 0
	v_dual_mov_b32 v127, v129 :: v_dual_add_nc_u32 v128, 63, v126
	v_lshlrev_b64_e32 v[10:11], 4, v[124:125]
	v_lshl_add_u32 v28, v126, 4, 0
	s_delay_alu instid0(VALU_DEP_3)
	v_lshlrev_b64_e32 v[12:13], 4, v[126:127]
	v_add3_u32 v1, v1, v3, v2
	ds_load_b128 v[2:5], v28
	ds_load_b128 v[6:9], v28 offset:1008
	v_lshlrev_b64_e32 v[18:19], 4, v[128:129]
	v_add_nc_u32_e32 v128, 0x7e, v126
	v_lshlrev_b64_e32 v[0:1], 4, v[0:1]
	s_delay_alu instid0(VALU_DEP_2) | instskip(SKIP_1) | instid1(VALU_DEP_3)
	v_lshlrev_b64_e32 v[20:21], 4, v[128:129]
	v_add_nc_u32_e32 v128, 0xbd, v126
	v_add_co_u32 v0, vcc_lo, s6, v0
	s_wait_alu 0xfffd
	s_delay_alu instid0(VALU_DEP_4) | instskip(NEXT) | instid1(VALU_DEP_3)
	v_add_co_ci_u32_e32 v1, vcc_lo, s7, v1, vcc_lo
	v_lshlrev_b64_e32 v[24:25], 4, v[128:129]
	s_delay_alu instid0(VALU_DEP_3) | instskip(SKIP_1) | instid1(VALU_DEP_3)
	v_add_co_u32 v0, vcc_lo, v0, v10
	s_wait_alu 0xfffd
	v_add_co_ci_u32_e32 v1, vcc_lo, v1, v11, vcc_lo
	v_add_nc_u32_e32 v128, 0xfc, v126
	s_delay_alu instid0(VALU_DEP_3) | instskip(SKIP_1) | instid1(VALU_DEP_3)
	v_add_co_u32 v22, vcc_lo, v0, v12
	s_wait_alu 0xfffd
	v_add_co_ci_u32_e32 v23, vcc_lo, v1, v13, vcc_lo
	ds_load_b128 v[10:13], v28 offset:2016
	ds_load_b128 v[14:17], v28 offset:3024
	v_add_co_u32 v18, vcc_lo, v0, v18
	s_wait_alu 0xfffd
	v_add_co_ci_u32_e32 v19, vcc_lo, v1, v19, vcc_lo
	v_add_co_u32 v20, vcc_lo, v0, v20
	s_wait_alu 0xfffd
	v_add_co_ci_u32_e32 v21, vcc_lo, v1, v21, vcc_lo
	v_add_co_u32 v24, vcc_lo, v0, v24
	v_lshlrev_b64_e32 v[26:27], 4, v[128:129]
	v_add_nc_u32_e32 v128, 0x13b, v126
	s_wait_alu 0xfffd
	v_add_co_ci_u32_e32 v25, vcc_lo, v1, v25, vcc_lo
	s_wait_dscnt 0x3
	global_store_b128 v[22:23], v[2:5], off
	s_wait_dscnt 0x2
	global_store_b128 v[18:19], v[6:9], off
	;; [unrolled: 2-line block ×4, first 2 shown]
	v_lshlrev_b64_e32 v[18:19], 4, v[128:129]
	v_add_nc_u32_e32 v128, 0x17a, v126
	ds_load_b128 v[2:5], v28 offset:4032
	ds_load_b128 v[6:9], v28 offset:5040
	;; [unrolled: 1-line block ×4, first 2 shown]
	v_add_co_u32 v20, vcc_lo, v0, v26
	v_lshlrev_b64_e32 v[22:23], 4, v[128:129]
	v_add_nc_u32_e32 v128, 0x1b9, v126
	s_wait_alu 0xfffd
	v_add_co_ci_u32_e32 v21, vcc_lo, v1, v27, vcc_lo
	v_add_co_u32 v18, vcc_lo, v0, v18
	s_delay_alu instid0(VALU_DEP_3)
	v_lshlrev_b64_e32 v[24:25], 4, v[128:129]
	v_add_nc_u32_e32 v128, 0x1f8, v126
	s_wait_alu 0xfffd
	v_add_co_ci_u32_e32 v19, vcc_lo, v1, v19, vcc_lo
	v_add_co_u32 v22, vcc_lo, v0, v22
	s_wait_alu 0xfffd
	v_add_co_ci_u32_e32 v23, vcc_lo, v1, v23, vcc_lo
	v_add_co_u32 v24, vcc_lo, v0, v24
	v_lshlrev_b64_e32 v[26:27], 4, v[128:129]
	v_add_nc_u32_e32 v128, 0x237, v126
	s_wait_alu 0xfffd
	v_add_co_ci_u32_e32 v25, vcc_lo, v1, v25, vcc_lo
	s_wait_dscnt 0x3
	global_store_b128 v[20:21], v[2:5], off
	s_wait_dscnt 0x2
	global_store_b128 v[18:19], v[6:9], off
	;; [unrolled: 2-line block ×4, first 2 shown]
	ds_load_b128 v[2:5], v28 offset:8064
	ds_load_b128 v[6:9], v28 offset:9072
	v_lshlrev_b64_e32 v[18:19], 4, v[128:129]
	v_add_nc_u32_e32 v128, 0x276, v126
	ds_load_b128 v[10:13], v28 offset:10080
	ds_load_b128 v[14:17], v28 offset:11088
	v_add_co_u32 v20, vcc_lo, v0, v26
	s_wait_alu 0xfffd
	v_add_co_ci_u32_e32 v21, vcc_lo, v1, v27, vcc_lo
	v_lshlrev_b64_e32 v[22:23], 4, v[128:129]
	v_add_nc_u32_e32 v128, 0x2b5, v126
	v_add_co_u32 v18, vcc_lo, v0, v18
	s_wait_alu 0xfffd
	v_add_co_ci_u32_e32 v19, vcc_lo, v1, v19, vcc_lo
	s_delay_alu instid0(VALU_DEP_3) | instskip(SKIP_4) | instid1(VALU_DEP_4)
	v_lshlrev_b64_e32 v[24:25], 4, v[128:129]
	v_add_nc_u32_e32 v128, 0x2f4, v126
	v_add_co_u32 v22, vcc_lo, v0, v22
	s_wait_alu 0xfffd
	v_add_co_ci_u32_e32 v23, vcc_lo, v1, v23, vcc_lo
	v_add_co_u32 v24, vcc_lo, v0, v24
	v_lshlrev_b64_e32 v[26:27], 4, v[128:129]
	v_add_nc_u32_e32 v128, 0x333, v126
	s_wait_alu 0xfffd
	v_add_co_ci_u32_e32 v25, vcc_lo, v1, v25, vcc_lo
	s_wait_dscnt 0x3
	global_store_b128 v[20:21], v[2:5], off
	s_wait_dscnt 0x2
	global_store_b128 v[18:19], v[6:9], off
	;; [unrolled: 2-line block ×4, first 2 shown]
	ds_load_b128 v[2:5], v28 offset:12096
	ds_load_b128 v[6:9], v28 offset:13104
	v_lshlrev_b64_e32 v[18:19], 4, v[128:129]
	v_add_nc_u32_e32 v128, 0x372, v126
	ds_load_b128 v[10:13], v28 offset:14112
	ds_load_b128 v[14:17], v28 offset:15120
	v_add_co_u32 v20, vcc_lo, v0, v26
	s_wait_alu 0xfffd
	v_add_co_ci_u32_e32 v21, vcc_lo, v1, v27, vcc_lo
	v_lshlrev_b64_e32 v[22:23], 4, v[128:129]
	v_add_nc_u32_e32 v128, 0x3b1, v126
	v_add_co_u32 v18, vcc_lo, v0, v18
	s_wait_alu 0xfffd
	v_add_co_ci_u32_e32 v19, vcc_lo, v1, v19, vcc_lo
	s_delay_alu instid0(VALU_DEP_3) | instskip(SKIP_4) | instid1(VALU_DEP_3)
	v_lshlrev_b64_e32 v[24:25], 4, v[128:129]
	v_add_nc_u32_e32 v128, 0x3f0, v126
	v_add_co_u32 v22, vcc_lo, v0, v22
	s_wait_alu 0xfffd
	v_add_co_ci_u32_e32 v23, vcc_lo, v1, v23, vcc_lo
	v_lshlrev_b64_e32 v[26:27], 4, v[128:129]
	v_add_nc_u32_e32 v128, 0x42f, v126
	v_add_co_u32 v24, vcc_lo, v0, v24
	s_wait_alu 0xfffd
	v_add_co_ci_u32_e32 v25, vcc_lo, v1, v25, vcc_lo
	s_wait_dscnt 0x3
	global_store_b128 v[20:21], v[2:5], off
	s_wait_dscnt 0x2
	global_store_b128 v[18:19], v[6:9], off
	;; [unrolled: 2-line block ×4, first 2 shown]
	v_lshlrev_b64_e32 v[20:21], 4, v[128:129]
	v_add_nc_u32_e32 v128, 0x46e, v126
	ds_load_b128 v[2:5], v28 offset:16128
	ds_load_b128 v[6:9], v28 offset:17136
	;; [unrolled: 1-line block ×4, first 2 shown]
	v_add_co_u32 v18, vcc_lo, v0, v26
	s_wait_alu 0xfffd
	v_add_co_ci_u32_e32 v19, vcc_lo, v1, v27, vcc_lo
	v_lshlrev_b64_e32 v[22:23], 4, v[128:129]
	v_add_nc_u32_e32 v128, 0x4ad, v126
	v_add_co_u32 v20, vcc_lo, v0, v20
	s_wait_alu 0xfffd
	v_add_co_ci_u32_e32 v21, vcc_lo, v1, v21, vcc_lo
	s_delay_alu instid0(VALU_DEP_3) | instskip(SKIP_3) | instid1(VALU_DEP_3)
	v_lshlrev_b64_e32 v[24:25], 4, v[128:129]
	v_add_co_u32 v22, vcc_lo, v0, v22
	s_wait_alu 0xfffd
	v_add_co_ci_u32_e32 v23, vcc_lo, v1, v23, vcc_lo
	v_add_co_u32 v24, vcc_lo, v0, v24
	s_wait_alu 0xfffd
	v_add_co_ci_u32_e32 v25, vcc_lo, v1, v25, vcc_lo
	v_cmp_eq_u32_e32 vcc_lo, 62, v126
	s_wait_dscnt 0x3
	global_store_b128 v[18:19], v[2:5], off
	s_wait_dscnt 0x2
	global_store_b128 v[20:21], v[6:9], off
	;; [unrolled: 2-line block ×4, first 2 shown]
	s_and_b32 exec_lo, exec_lo, vcc_lo
	s_cbranch_execz .LBB0_32
; %bb.31:
	v_mov_b32_e32 v2, 0
	ds_load_b128 v[2:5], v2 offset:20160
	s_wait_dscnt 0x0
	global_store_b128 v[0:1], v[2:5], off offset:20160
.LBB0_32:
	s_nop 0
	s_sendmsg sendmsg(MSG_DEALLOC_VGPRS)
	s_endpgm
	.section	.rodata,"a",@progbits
	.p2align	6, 0x0
	.amdhsa_kernel fft_rtc_back_len1260_factors_2_2_3_3_5_7_wgs_63_tpt_63_halfLds_dp_op_CI_CI_unitstride_sbrr_R2C_dirReg
		.amdhsa_group_segment_fixed_size 0
		.amdhsa_private_segment_fixed_size 0
		.amdhsa_kernarg_size 104
		.amdhsa_user_sgpr_count 2
		.amdhsa_user_sgpr_dispatch_ptr 0
		.amdhsa_user_sgpr_queue_ptr 0
		.amdhsa_user_sgpr_kernarg_segment_ptr 1
		.amdhsa_user_sgpr_dispatch_id 0
		.amdhsa_user_sgpr_private_segment_size 0
		.amdhsa_wavefront_size32 1
		.amdhsa_uses_dynamic_stack 0
		.amdhsa_enable_private_segment 0
		.amdhsa_system_sgpr_workgroup_id_x 1
		.amdhsa_system_sgpr_workgroup_id_y 0
		.amdhsa_system_sgpr_workgroup_id_z 0
		.amdhsa_system_sgpr_workgroup_info 0
		.amdhsa_system_vgpr_workitem_id 0
		.amdhsa_next_free_vgpr 230
		.amdhsa_next_free_sgpr 39
		.amdhsa_reserve_vcc 1
		.amdhsa_float_round_mode_32 0
		.amdhsa_float_round_mode_16_64 0
		.amdhsa_float_denorm_mode_32 3
		.amdhsa_float_denorm_mode_16_64 3
		.amdhsa_fp16_overflow 0
		.amdhsa_workgroup_processor_mode 1
		.amdhsa_memory_ordered 1
		.amdhsa_forward_progress 0
		.amdhsa_round_robin_scheduling 0
		.amdhsa_exception_fp_ieee_invalid_op 0
		.amdhsa_exception_fp_denorm_src 0
		.amdhsa_exception_fp_ieee_div_zero 0
		.amdhsa_exception_fp_ieee_overflow 0
		.amdhsa_exception_fp_ieee_underflow 0
		.amdhsa_exception_fp_ieee_inexact 0
		.amdhsa_exception_int_div_zero 0
	.end_amdhsa_kernel
	.text
.Lfunc_end0:
	.size	fft_rtc_back_len1260_factors_2_2_3_3_5_7_wgs_63_tpt_63_halfLds_dp_op_CI_CI_unitstride_sbrr_R2C_dirReg, .Lfunc_end0-fft_rtc_back_len1260_factors_2_2_3_3_5_7_wgs_63_tpt_63_halfLds_dp_op_CI_CI_unitstride_sbrr_R2C_dirReg
                                        ; -- End function
	.section	.AMDGPU.csdata,"",@progbits
; Kernel info:
; codeLenInByte = 17844
; NumSgprs: 41
; NumVgprs: 230
; ScratchSize: 0
; MemoryBound: 0
; FloatMode: 240
; IeeeMode: 1
; LDSByteSize: 0 bytes/workgroup (compile time only)
; SGPRBlocks: 5
; VGPRBlocks: 28
; NumSGPRsForWavesPerEU: 41
; NumVGPRsForWavesPerEU: 230
; Occupancy: 6
; WaveLimiterHint : 1
; COMPUTE_PGM_RSRC2:SCRATCH_EN: 0
; COMPUTE_PGM_RSRC2:USER_SGPR: 2
; COMPUTE_PGM_RSRC2:TRAP_HANDLER: 0
; COMPUTE_PGM_RSRC2:TGID_X_EN: 1
; COMPUTE_PGM_RSRC2:TGID_Y_EN: 0
; COMPUTE_PGM_RSRC2:TGID_Z_EN: 0
; COMPUTE_PGM_RSRC2:TIDIG_COMP_CNT: 0
	.text
	.p2alignl 7, 3214868480
	.fill 96, 4, 3214868480
	.type	__hip_cuid_6ddfe5ac199d2731,@object ; @__hip_cuid_6ddfe5ac199d2731
	.section	.bss,"aw",@nobits
	.globl	__hip_cuid_6ddfe5ac199d2731
__hip_cuid_6ddfe5ac199d2731:
	.byte	0                               ; 0x0
	.size	__hip_cuid_6ddfe5ac199d2731, 1

	.ident	"AMD clang version 19.0.0git (https://github.com/RadeonOpenCompute/llvm-project roc-6.4.0 25133 c7fe45cf4b819c5991fe208aaa96edf142730f1d)"
	.section	".note.GNU-stack","",@progbits
	.addrsig
	.addrsig_sym __hip_cuid_6ddfe5ac199d2731
	.amdgpu_metadata
---
amdhsa.kernels:
  - .args:
      - .actual_access:  read_only
        .address_space:  global
        .offset:         0
        .size:           8
        .value_kind:     global_buffer
      - .offset:         8
        .size:           8
        .value_kind:     by_value
      - .actual_access:  read_only
        .address_space:  global
        .offset:         16
        .size:           8
        .value_kind:     global_buffer
      - .actual_access:  read_only
        .address_space:  global
        .offset:         24
        .size:           8
        .value_kind:     global_buffer
      - .actual_access:  read_only
        .address_space:  global
        .offset:         32
        .size:           8
        .value_kind:     global_buffer
      - .offset:         40
        .size:           8
        .value_kind:     by_value
      - .actual_access:  read_only
        .address_space:  global
        .offset:         48
        .size:           8
        .value_kind:     global_buffer
      - .actual_access:  read_only
        .address_space:  global
        .offset:         56
        .size:           8
        .value_kind:     global_buffer
      - .offset:         64
        .size:           4
        .value_kind:     by_value
      - .actual_access:  read_only
        .address_space:  global
        .offset:         72
        .size:           8
        .value_kind:     global_buffer
      - .actual_access:  read_only
        .address_space:  global
        .offset:         80
        .size:           8
        .value_kind:     global_buffer
      - .actual_access:  read_only
        .address_space:  global
        .offset:         88
        .size:           8
        .value_kind:     global_buffer
      - .actual_access:  write_only
        .address_space:  global
        .offset:         96
        .size:           8
        .value_kind:     global_buffer
    .group_segment_fixed_size: 0
    .kernarg_segment_align: 8
    .kernarg_segment_size: 104
    .language:       OpenCL C
    .language_version:
      - 2
      - 0
    .max_flat_workgroup_size: 63
    .name:           fft_rtc_back_len1260_factors_2_2_3_3_5_7_wgs_63_tpt_63_halfLds_dp_op_CI_CI_unitstride_sbrr_R2C_dirReg
    .private_segment_fixed_size: 0
    .sgpr_count:     41
    .sgpr_spill_count: 0
    .symbol:         fft_rtc_back_len1260_factors_2_2_3_3_5_7_wgs_63_tpt_63_halfLds_dp_op_CI_CI_unitstride_sbrr_R2C_dirReg.kd
    .uniform_work_group_size: 1
    .uses_dynamic_stack: false
    .vgpr_count:     230
    .vgpr_spill_count: 0
    .wavefront_size: 32
    .workgroup_processor_mode: 1
amdhsa.target:   amdgcn-amd-amdhsa--gfx1201
amdhsa.version:
  - 1
  - 2
...

	.end_amdgpu_metadata
